;; amdgpu-corpus repo=zjin-lcf/HeCBench kind=compiled arch=gfx1100 opt=O3
	.text
	.amdgcn_target "amdgcn-amd-amdhsa--gfx1100"
	.amdhsa_code_object_version 6
	.protected	_Z12vanGenuchtenPKdS0_PdS1_S1_i ; -- Begin function _Z12vanGenuchtenPKdS0_PdS1_S1_i
	.globl	_Z12vanGenuchtenPKdS0_PdS1_S1_i
	.p2align	8
	.type	_Z12vanGenuchtenPKdS0_PdS1_S1_i,@function
_Z12vanGenuchtenPKdS0_PdS1_S1_i:        ; @_Z12vanGenuchtenPKdS0_PdS1_S1_i
; %bb.0:
	s_clause 0x1
	s_load_b32 s2, s[0:1], 0x3c
	s_load_b32 s3, s[0:1], 0x28
	s_waitcnt lgkmcnt(0)
	s_and_b32 s2, s2, 0xffff
	s_delay_alu instid0(SALU_CYCLE_1) | instskip(SKIP_1) | instid1(VALU_DEP_1)
	v_mad_u64_u32 v[1:2], null, s15, s2, v[0:1]
	s_mov_b32 s2, exec_lo
	v_cmpx_gt_i32_e64 s3, v1
	s_cbranch_execz .LBB0_6
; %bb.1:
	s_load_b256 s[8:15], s[0:1], 0x0
	v_ashrrev_i32_e32 v2, 31, v1
	s_delay_alu instid0(VALU_DEP_1) | instskip(SKIP_1) | instid1(VALU_DEP_1)
	v_lshlrev_b64 v[0:1], 3, v[1:2]
	s_waitcnt lgkmcnt(0)
	v_add_co_u32 v2, vcc_lo, s10, v0
	s_delay_alu instid0(VALU_DEP_2)
	v_add_co_ci_u32_e32 v3, vcc_lo, s11, v1, vcc_lo
	s_load_b64 s[10:11], s[0:1], 0x20
	s_mov_b32 s0, 0xcccccccd
	s_mov_b32 s1, 0x3fdccccc
	global_load_b64 v[2:3], v[2:3], off
	v_dual_mov_b32 v7, s1 :: v_dual_mov_b32 v6, s0
	s_waitcnt vmcnt(0)
	v_mul_f64 v[2:3], 0x40590000, v[2:3]
	s_delay_alu instid0(VALU_DEP_1) | instskip(NEXT) | instid1(VALU_DEP_1)
	v_cmp_gt_f64_e64 s2, 0, v[2:3]
	s_and_saveexec_b32 s33, s2
	s_cbranch_execz .LBB0_3
; %bb.2:
	s_mov_b32 s0, 0x47ae147b
	s_mov_b32 s1, 0xbf947ae1
	;; [unrolled: 1-line block ×3, first 2 shown]
	v_mul_f64 v[4:5], v[2:3], s[0:1]
	s_mov_b32 s5, 0x3fe55555
	v_mov_b32_e32 v8, 0
	s_mov_b32 s6, 0x968915a9
	s_mov_b32 s16, 0x4222de17
	;; [unrolled: 1-line block ×26, first 2 shown]
	v_mov_b32_e32 v28, 0x3ff00000
	s_mov_b32 s42, 0x652b82fe
	s_mov_b32 s43, 0x3ff71547
	s_mov_b32 s45, 0xbfe62e42
	s_mov_b32 s44, s38
	s_mov_b32 s47, 0xbc7abc9e
	s_mov_b32 s46, s40
	s_mov_b32 s48, 0xfca7ab0c
	s_mov_b32 s50, 0x6a5dcb37
	v_frexp_mant_f64_e32 v[6:7], v[4:5]
	s_mov_b32 s49, 0x3e928af3
	s_mov_b32 s51, 0x3e5ade15
	s_mov_b32 s52, 0x623fde64
	s_mov_b32 s53, 0x3ec71dee
	s_mov_b32 s54, 0x7c89e6b0
	s_mov_b32 s55, 0x3efa0199
	s_mov_b32 s56, 0x14761f6e
	s_mov_b32 s57, 0x3f2a01a0
	s_mov_b32 s58, 0x1852b7b0
	s_mov_b32 s59, 0x3f56c16c
	s_mov_b32 s60, 0x11122322
	s_mov_b32 s61, 0x3f811111
	s_mov_b32 s62, 0x555502a1
	s_mov_b32 s63, 0x3fa55555
	s_mov_b32 s64, 0x55555511
	s_mov_b32 s65, 0x3fc55555
	s_mov_b32 s66, 11
	s_mov_b32 s67, 0x3fe00000
	s_delay_alu instid0(VALU_DEP_1) | instskip(SKIP_1) | instid1(VALU_DEP_1)
	v_cmp_gt_f64_e32 vcc_lo, s[4:5], v[6:7]
	v_cndmask_b32_e64 v9, 0x3ff00000, 2.0, vcc_lo
	v_mul_f64 v[6:7], v[6:7], v[8:9]
	s_delay_alu instid0(VALU_DEP_1) | instskip(SKIP_1) | instid1(VALU_DEP_2)
	v_add_f64 v[9:10], v[6:7], 1.0
	v_add_f64 v[15:16], v[6:7], -1.0
	v_rcp_f64_e32 v[11:12], v[9:10]
	v_add_f64 v[17:18], v[9:10], -1.0
	s_delay_alu instid0(VALU_DEP_1) | instskip(SKIP_2) | instid1(VALU_DEP_1)
	v_add_f64 v[6:7], v[6:7], -v[17:18]
	s_waitcnt_depctr 0xfff
	v_fma_f64 v[13:14], -v[9:10], v[11:12], 1.0
	v_fma_f64 v[11:12], v[13:14], v[11:12], v[11:12]
	s_delay_alu instid0(VALU_DEP_1) | instskip(NEXT) | instid1(VALU_DEP_1)
	v_fma_f64 v[13:14], -v[9:10], v[11:12], 1.0
	v_fma_f64 v[11:12], v[13:14], v[11:12], v[11:12]
	s_delay_alu instid0(VALU_DEP_1) | instskip(NEXT) | instid1(VALU_DEP_1)
	v_mul_f64 v[13:14], v[15:16], v[11:12]
	v_mul_f64 v[19:20], v[9:10], v[13:14]
	s_delay_alu instid0(VALU_DEP_1) | instskip(NEXT) | instid1(VALU_DEP_1)
	v_fma_f64 v[9:10], v[13:14], v[9:10], -v[19:20]
	v_fma_f64 v[6:7], v[13:14], v[6:7], v[9:10]
	s_delay_alu instid0(VALU_DEP_1) | instskip(NEXT) | instid1(VALU_DEP_1)
	v_add_f64 v[9:10], v[19:20], v[6:7]
	v_add_f64 v[17:18], v[15:16], -v[9:10]
	v_add_f64 v[19:20], v[9:10], -v[19:20]
	s_delay_alu instid0(VALU_DEP_2) | instskip(NEXT) | instid1(VALU_DEP_2)
	v_add_f64 v[15:16], v[15:16], -v[17:18]
	v_add_f64 v[6:7], v[19:20], -v[6:7]
	s_delay_alu instid0(VALU_DEP_2) | instskip(NEXT) | instid1(VALU_DEP_1)
	v_add_f64 v[9:10], v[15:16], -v[9:10]
	v_add_f64 v[6:7], v[6:7], v[9:10]
	s_delay_alu instid0(VALU_DEP_1) | instskip(NEXT) | instid1(VALU_DEP_1)
	v_add_f64 v[6:7], v[17:18], v[6:7]
	v_mul_f64 v[6:7], v[11:12], v[6:7]
	s_delay_alu instid0(VALU_DEP_1) | instskip(NEXT) | instid1(VALU_DEP_1)
	v_add_f64 v[9:10], v[13:14], v[6:7]
	v_add_f64 v[11:12], v[9:10], -v[13:14]
	v_mul_f64 v[13:14], v[9:10], v[9:10]
	s_delay_alu instid0(VALU_DEP_2) | instskip(NEXT) | instid1(VALU_DEP_2)
	v_add_f64 v[6:7], v[6:7], -v[11:12]
	v_fma_f64 v[11:12], v[9:10], v[9:10], -v[13:14]
	s_delay_alu instid0(VALU_DEP_2) | instskip(NEXT) | instid1(VALU_DEP_1)
	v_add_f64 v[15:16], v[6:7], v[6:7]
	v_fma_f64 v[11:12], v[9:10], v[15:16], v[11:12]
	s_delay_alu instid0(VALU_DEP_1) | instskip(NEXT) | instid1(VALU_DEP_1)
	v_add_f64 v[15:16], v[13:14], v[11:12]
	v_fma_f64 v[17:18], v[15:16], s[16:17], s[6:7]
	v_add_f64 v[13:14], v[15:16], -v[13:14]
	v_mul_f64 v[23:24], v[9:10], v[15:16]
	s_delay_alu instid0(VALU_DEP_3) | instskip(NEXT) | instid1(VALU_DEP_3)
	v_fma_f64 v[17:18], v[15:16], v[17:18], s[18:19]
	v_add_f64 v[11:12], v[11:12], -v[13:14]
	s_delay_alu instid0(VALU_DEP_2) | instskip(NEXT) | instid1(VALU_DEP_1)
	v_fma_f64 v[17:18], v[15:16], v[17:18], s[20:21]
	v_fma_f64 v[17:18], v[15:16], v[17:18], s[22:23]
	s_delay_alu instid0(VALU_DEP_1) | instskip(NEXT) | instid1(VALU_DEP_1)
	v_fma_f64 v[17:18], v[15:16], v[17:18], s[24:25]
	v_fma_f64 v[17:18], v[15:16], v[17:18], s[26:27]
	s_delay_alu instid0(VALU_DEP_1) | instskip(NEXT) | instid1(VALU_DEP_1)
	;; [unrolled: 3-line block ×3, first 2 shown]
	v_mul_f64 v[19:20], v[15:16], v[17:18]
	v_fma_f64 v[13:14], v[15:16], v[17:18], -v[19:20]
	s_delay_alu instid0(VALU_DEP_1) | instskip(NEXT) | instid1(VALU_DEP_1)
	v_fma_f64 v[13:14], v[11:12], v[17:18], v[13:14]
	v_add_f64 v[17:18], v[19:20], v[13:14]
	s_delay_alu instid0(VALU_DEP_1) | instskip(SKIP_1) | instid1(VALU_DEP_2)
	v_add_f64 v[21:22], v[17:18], s[4:5]
	v_add_f64 v[19:20], v[17:18], -v[19:20]
	v_add_f64 v[25:26], v[21:22], s[34:35]
	s_delay_alu instid0(VALU_DEP_2) | instskip(SKIP_1) | instid1(VALU_DEP_3)
	v_add_f64 v[13:14], v[13:14], -v[19:20]
	v_fma_f64 v[19:20], v[15:16], v[9:10], -v[23:24]
	v_add_f64 v[17:18], v[17:18], -v[25:26]
	s_delay_alu instid0(VALU_DEP_3) | instskip(NEXT) | instid1(VALU_DEP_3)
	v_add_f64 v[13:14], v[13:14], s[36:37]
	v_fma_f64 v[15:16], v[15:16], v[6:7], v[19:20]
	v_ldexp_f64 v[6:7], v[6:7], 1
	s_delay_alu instid0(VALU_DEP_3) | instskip(NEXT) | instid1(VALU_DEP_3)
	v_add_f64 v[13:14], v[13:14], v[17:18]
	v_fma_f64 v[11:12], v[11:12], v[9:10], v[15:16]
	v_ldexp_f64 v[9:10], v[9:10], 1
	s_delay_alu instid0(VALU_DEP_3) | instskip(NEXT) | instid1(VALU_DEP_3)
	v_add_f64 v[15:16], v[21:22], v[13:14]
	v_add_f64 v[17:18], v[23:24], v[11:12]
	s_delay_alu instid0(VALU_DEP_2) | instskip(NEXT) | instid1(VALU_DEP_2)
	v_add_f64 v[19:20], v[21:22], -v[15:16]
	v_mul_f64 v[21:22], v[17:18], v[15:16]
	v_add_f64 v[23:24], v[17:18], -v[23:24]
	s_delay_alu instid0(VALU_DEP_3) | instskip(NEXT) | instid1(VALU_DEP_3)
	v_add_f64 v[13:14], v[13:14], v[19:20]
	v_fma_f64 v[19:20], v[17:18], v[15:16], -v[21:22]
	s_delay_alu instid0(VALU_DEP_3) | instskip(NEXT) | instid1(VALU_DEP_2)
	v_add_f64 v[11:12], v[11:12], -v[23:24]
	v_fma_f64 v[13:14], v[17:18], v[13:14], v[19:20]
	s_delay_alu instid0(VALU_DEP_1) | instskip(SKIP_1) | instid1(VALU_DEP_2)
	v_fma_f64 v[11:12], v[11:12], v[15:16], v[13:14]
	v_frexp_exp_i32_f64_e32 v15, v[4:5]
	v_add_f64 v[13:14], v[21:22], v[11:12]
	s_delay_alu instid0(VALU_DEP_2) | instskip(SKIP_1) | instid1(VALU_DEP_2)
	v_subrev_co_ci_u32_e32 v15, vcc_lo, 0, v15, vcc_lo
	v_cmp_eq_f64_e32 vcc_lo, 1.0, v[4:5]
	v_cvt_f64_i32_e32 v[15:16], v15
	s_delay_alu instid0(VALU_DEP_4) | instskip(SKIP_1) | instid1(VALU_DEP_3)
	v_add_f64 v[17:18], v[9:10], v[13:14]
	v_add_f64 v[19:20], v[13:14], -v[21:22]
	v_mul_f64 v[21:22], v[15:16], s[38:39]
	s_delay_alu instid0(VALU_DEP_3) | instskip(NEXT) | instid1(VALU_DEP_3)
	v_add_f64 v[9:10], v[17:18], -v[9:10]
	v_add_f64 v[11:12], v[11:12], -v[19:20]
	s_delay_alu instid0(VALU_DEP_3) | instskip(NEXT) | instid1(VALU_DEP_3)
	v_fma_f64 v[19:20], v[15:16], s[38:39], -v[21:22]
	v_add_f64 v[9:10], v[13:14], -v[9:10]
	s_delay_alu instid0(VALU_DEP_3) | instskip(NEXT) | instid1(VALU_DEP_3)
	v_add_f64 v[6:7], v[6:7], v[11:12]
	v_fma_f64 v[11:12], v[15:16], s[40:41], v[19:20]
	s_delay_alu instid0(VALU_DEP_2) | instskip(NEXT) | instid1(VALU_DEP_2)
	v_add_f64 v[6:7], v[6:7], v[9:10]
	v_add_f64 v[9:10], v[21:22], v[11:12]
	s_delay_alu instid0(VALU_DEP_2) | instskip(NEXT) | instid1(VALU_DEP_2)
	v_add_f64 v[13:14], v[17:18], v[6:7]
	v_add_f64 v[21:22], v[9:10], -v[21:22]
	s_delay_alu instid0(VALU_DEP_2) | instskip(SKIP_1) | instid1(VALU_DEP_3)
	v_add_f64 v[15:16], v[9:10], v[13:14]
	v_add_f64 v[17:18], v[13:14], -v[17:18]
	v_add_f64 v[11:12], v[11:12], -v[21:22]
	s_delay_alu instid0(VALU_DEP_3) | instskip(NEXT) | instid1(VALU_DEP_3)
	v_add_f64 v[19:20], v[15:16], -v[9:10]
	v_add_f64 v[6:7], v[6:7], -v[17:18]
	s_delay_alu instid0(VALU_DEP_2) | instskip(SKIP_1) | instid1(VALU_DEP_3)
	v_add_f64 v[23:24], v[15:16], -v[19:20]
	v_add_f64 v[13:14], v[13:14], -v[19:20]
	v_add_f64 v[17:18], v[11:12], v[6:7]
	s_delay_alu instid0(VALU_DEP_3) | instskip(NEXT) | instid1(VALU_DEP_1)
	v_add_f64 v[9:10], v[9:10], -v[23:24]
	v_add_f64 v[9:10], v[13:14], v[9:10]
	s_delay_alu instid0(VALU_DEP_3) | instskip(NEXT) | instid1(VALU_DEP_2)
	v_add_f64 v[13:14], v[17:18], -v[11:12]
	v_add_f64 v[9:10], v[17:18], v[9:10]
	s_delay_alu instid0(VALU_DEP_2) | instskip(SKIP_1) | instid1(VALU_DEP_3)
	v_add_f64 v[17:18], v[17:18], -v[13:14]
	v_add_f64 v[6:7], v[6:7], -v[13:14]
	v_add_f64 v[19:20], v[15:16], v[9:10]
	s_delay_alu instid0(VALU_DEP_3) | instskip(NEXT) | instid1(VALU_DEP_2)
	v_add_f64 v[11:12], v[11:12], -v[17:18]
	v_add_f64 v[13:14], v[19:20], -v[15:16]
	s_delay_alu instid0(VALU_DEP_2) | instskip(SKIP_2) | instid1(VALU_DEP_4)
	v_add_f64 v[6:7], v[6:7], v[11:12]
	v_cndmask_b32_e32 v12, 0x3ffccccc, v28, vcc_lo
	v_cndmask_b32_e64 v11, 0xcccccccd, 0, vcc_lo
	v_add_f64 v[9:10], v[9:10], -v[13:14]
	s_delay_alu instid0(VALU_DEP_1) | instskip(NEXT) | instid1(VALU_DEP_1)
	v_add_f64 v[6:7], v[6:7], v[9:10]
	v_add_f64 v[9:10], v[19:20], v[6:7]
	s_delay_alu instid0(VALU_DEP_1) | instskip(SKIP_1) | instid1(VALU_DEP_2)
	v_add_f64 v[13:14], v[9:10], -v[19:20]
	v_mul_f64 v[15:16], v[11:12], v[9:10]
	v_add_f64 v[6:7], v[6:7], -v[13:14]
	s_delay_alu instid0(VALU_DEP_2) | instskip(SKIP_1) | instid1(VALU_DEP_2)
	v_fma_f64 v[9:10], v[11:12], v[9:10], -v[15:16]
	v_cmp_class_f64_e64 vcc_lo, v[15:16], 0x204
	v_fma_f64 v[6:7], v[11:12], v[6:7], v[9:10]
	s_delay_alu instid0(VALU_DEP_1) | instskip(NEXT) | instid1(VALU_DEP_1)
	v_add_f64 v[9:10], v[15:16], v[6:7]
	v_dual_cndmask_b32 v12, v10, v16 :: v_dual_cndmask_b32 v11, v9, v15
	v_add_f64 v[9:10], v[9:10], -v[15:16]
	s_delay_alu instid0(VALU_DEP_2)
	v_mul_f64 v[13:14], v[11:12], s[42:43]
	v_cmp_lt_f64_e32 vcc_lo, 0x40900000, v[11:12]
	v_cmp_neq_f64_e64 s0, 0x7ff00000, |v[11:12]|
	v_cmp_ngt_f64_e64 s1, 0xc090cc00, v[11:12]
	v_add_f64 v[6:7], v[6:7], -v[9:10]
	v_rndne_f64_e32 v[13:14], v[13:14]
	s_delay_alu instid0(VALU_DEP_2) | instskip(NEXT) | instid1(VALU_DEP_3)
	v_cndmask_b32_e64 v7, 0, v7, s0
	v_cndmask_b32_e64 v6, 0, v6, s0
	s_delay_alu instid0(VALU_DEP_3) | instskip(SKIP_1) | instid1(VALU_DEP_2)
	v_fma_f64 v[17:18], v[13:14], s[44:45], v[11:12]
	v_cvt_i32_f64_e32 v21, v[13:14]
	v_fma_f64 v[17:18], v[13:14], s[46:47], v[17:18]
	s_delay_alu instid0(VALU_DEP_1) | instskip(NEXT) | instid1(VALU_DEP_1)
	v_fma_f64 v[19:20], v[17:18], s[50:51], s[48:49]
	v_fma_f64 v[19:20], v[17:18], v[19:20], s[52:53]
	s_delay_alu instid0(VALU_DEP_1) | instskip(NEXT) | instid1(VALU_DEP_1)
	v_fma_f64 v[19:20], v[17:18], v[19:20], s[54:55]
	;; [unrolled: 3-line block ×5, first 2 shown]
	v_fma_f64 v[19:20], v[17:18], v[19:20], 1.0
	s_delay_alu instid0(VALU_DEP_1) | instskip(NEXT) | instid1(VALU_DEP_1)
	v_fma_f64 v[13:14], v[17:18], v[19:20], 1.0
	v_ldexp_f64 v[13:14], v[13:14], v21
	s_delay_alu instid0(VALU_DEP_1) | instskip(NEXT) | instid1(VALU_DEP_2)
	v_cndmask_b32_e64 v9, v13, 0, vcc_lo
	v_cndmask_b32_e64 v10, v14, 0x7ff00000, vcc_lo
	v_and_b32_e32 v14, 0x7fffffff, v14
	s_delay_alu instid0(VALU_DEP_3) | instskip(NEXT) | instid1(VALU_DEP_3)
	v_cndmask_b32_e64 v9, 0, v9, s1
	v_cndmask_b32_e64 v10, 0, v10, s1
	s_delay_alu instid0(VALU_DEP_3) | instskip(NEXT) | instid1(VALU_DEP_2)
	v_cmp_eq_f64_e64 s0, 0x7ff00000, v[13:14]
	v_fma_f64 v[6:7], v[9:10], v[6:7], v[9:10]
	s_delay_alu instid0(VALU_DEP_2) | instskip(NEXT) | instid1(SALU_CYCLE_1)
	s_or_b32 s0, vcc_lo, s0
	s_and_b32 vcc_lo, s1, s0
	v_cmp_eq_f64_e64 s0, 0, v[4:5]
	s_delay_alu instid0(VALU_DEP_2) | instskip(SKIP_1) | instid1(VALU_DEP_2)
	v_dual_cndmask_b32 v7, v7, v10 :: v_dual_cndmask_b32 v6, v6, v9
	v_cmp_eq_f64_e32 vcc_lo, 0x7ff00000, v[4:5]
	v_add_f64 v[6:7], |v[6:7]|, 1.0
	s_delay_alu instid0(VALU_DEP_4) | instskip(NEXT) | instid1(VALU_DEP_1)
	s_or_b32 s1, s0, vcc_lo
	v_and_b32_e32 v4, 0x7fffffff, v7
	v_cndmask_b32_e64 v9, v7, 0x7ff00000, vcc_lo
	s_delay_alu instid0(VALU_DEP_2) | instskip(NEXT) | instid1(VALU_DEP_4)
	v_cndmask_b32_e64 v7, v4, 0x7ff00000, vcc_lo
	v_cndmask_b32_e64 v4, v6, 0, s1
	v_cndmask_b32_e64 v6, v6, 0, s1
	s_delay_alu instid0(VALU_DEP_4) | instskip(NEXT) | instid1(VALU_DEP_4)
	v_cndmask_b32_e64 v5, v9, 0x3ff00000, s0
	v_cndmask_b32_e64 v7, v7, 0x3ff00000, s0
	s_delay_alu instid0(VALU_DEP_1) | instskip(NEXT) | instid1(VALU_DEP_1)
	v_frexp_mant_f64_e32 v[10:11], v[6:7]
	v_cmp_gt_f64_e32 vcc_lo, s[4:5], v[10:11]
	v_cndmask_b32_e64 v9, 0x3ff00000, 2.0, vcc_lo
	s_delay_alu instid0(VALU_DEP_1) | instskip(NEXT) | instid1(VALU_DEP_1)
	v_mul_f64 v[8:9], v[10:11], v[8:9]
	v_add_f64 v[10:11], v[8:9], 1.0
	v_add_f64 v[16:17], v[8:9], -1.0
	s_delay_alu instid0(VALU_DEP_2) | instskip(SKIP_1) | instid1(VALU_DEP_1)
	v_rcp_f64_e32 v[12:13], v[10:11]
	v_add_f64 v[18:19], v[10:11], -1.0
	v_add_f64 v[8:9], v[8:9], -v[18:19]
	s_waitcnt_depctr 0xfff
	v_fma_f64 v[14:15], -v[10:11], v[12:13], 1.0
	s_delay_alu instid0(VALU_DEP_1) | instskip(NEXT) | instid1(VALU_DEP_1)
	v_fma_f64 v[12:13], v[14:15], v[12:13], v[12:13]
	v_fma_f64 v[14:15], -v[10:11], v[12:13], 1.0
	s_delay_alu instid0(VALU_DEP_1) | instskip(NEXT) | instid1(VALU_DEP_1)
	v_fma_f64 v[12:13], v[14:15], v[12:13], v[12:13]
	v_mul_f64 v[14:15], v[16:17], v[12:13]
	s_delay_alu instid0(VALU_DEP_1) | instskip(NEXT) | instid1(VALU_DEP_1)
	v_mul_f64 v[20:21], v[10:11], v[14:15]
	v_fma_f64 v[10:11], v[14:15], v[10:11], -v[20:21]
	s_delay_alu instid0(VALU_DEP_1) | instskip(NEXT) | instid1(VALU_DEP_1)
	v_fma_f64 v[8:9], v[14:15], v[8:9], v[10:11]
	v_add_f64 v[10:11], v[20:21], v[8:9]
	s_delay_alu instid0(VALU_DEP_1) | instskip(SKIP_1) | instid1(VALU_DEP_2)
	v_add_f64 v[18:19], v[16:17], -v[10:11]
	v_add_f64 v[20:21], v[10:11], -v[20:21]
	;; [unrolled: 1-line block ×3, first 2 shown]
	s_delay_alu instid0(VALU_DEP_2) | instskip(NEXT) | instid1(VALU_DEP_2)
	v_add_f64 v[8:9], v[20:21], -v[8:9]
	v_add_f64 v[10:11], v[16:17], -v[10:11]
	s_delay_alu instid0(VALU_DEP_1) | instskip(NEXT) | instid1(VALU_DEP_1)
	v_add_f64 v[8:9], v[8:9], v[10:11]
	v_add_f64 v[8:9], v[18:19], v[8:9]
	s_delay_alu instid0(VALU_DEP_1) | instskip(NEXT) | instid1(VALU_DEP_1)
	v_mul_f64 v[8:9], v[12:13], v[8:9]
	v_add_f64 v[10:11], v[14:15], v[8:9]
	s_delay_alu instid0(VALU_DEP_1) | instskip(SKIP_1) | instid1(VALU_DEP_2)
	v_add_f64 v[12:13], v[10:11], -v[14:15]
	v_mul_f64 v[14:15], v[10:11], v[10:11]
	v_add_f64 v[8:9], v[8:9], -v[12:13]
	s_delay_alu instid0(VALU_DEP_2) | instskip(NEXT) | instid1(VALU_DEP_2)
	v_fma_f64 v[12:13], v[10:11], v[10:11], -v[14:15]
	v_add_f64 v[16:17], v[8:9], v[8:9]
	s_delay_alu instid0(VALU_DEP_1) | instskip(NEXT) | instid1(VALU_DEP_1)
	v_fma_f64 v[12:13], v[10:11], v[16:17], v[12:13]
	v_add_f64 v[16:17], v[14:15], v[12:13]
	s_delay_alu instid0(VALU_DEP_1) | instskip(SKIP_3) | instid1(VALU_DEP_4)
	v_fma_f64 v[18:19], v[16:17], s[16:17], s[6:7]
	v_add_f64 v[14:15], v[16:17], -v[14:15]
	v_mul_f64 v[24:25], v[10:11], v[16:17]
	v_cmp_eq_f64_e64 s6, 0, v[4:5]
	v_fma_f64 v[18:19], v[16:17], v[18:19], s[18:19]
	s_delay_alu instid0(VALU_DEP_4) | instskip(NEXT) | instid1(VALU_DEP_2)
	v_add_f64 v[12:13], v[12:13], -v[14:15]
	v_fma_f64 v[18:19], v[16:17], v[18:19], s[20:21]
	s_delay_alu instid0(VALU_DEP_1) | instskip(NEXT) | instid1(VALU_DEP_1)
	v_fma_f64 v[18:19], v[16:17], v[18:19], s[22:23]
	v_fma_f64 v[18:19], v[16:17], v[18:19], s[24:25]
	s_delay_alu instid0(VALU_DEP_1) | instskip(NEXT) | instid1(VALU_DEP_1)
	v_fma_f64 v[18:19], v[16:17], v[18:19], s[26:27]
	;; [unrolled: 3-line block ×3, first 2 shown]
	v_mul_f64 v[20:21], v[16:17], v[18:19]
	s_delay_alu instid0(VALU_DEP_1) | instskip(NEXT) | instid1(VALU_DEP_1)
	v_fma_f64 v[14:15], v[16:17], v[18:19], -v[20:21]
	v_fma_f64 v[14:15], v[12:13], v[18:19], v[14:15]
	s_delay_alu instid0(VALU_DEP_1) | instskip(NEXT) | instid1(VALU_DEP_1)
	v_add_f64 v[18:19], v[20:21], v[14:15]
	v_add_f64 v[22:23], v[18:19], s[4:5]
	v_add_f64 v[20:21], v[18:19], -v[20:21]
	v_cmp_eq_f64_e64 s5, 0x7ff00000, v[6:7]
	s_delay_alu instid0(VALU_DEP_3) | instskip(NEXT) | instid1(VALU_DEP_3)
	v_add_f64 v[26:27], v[22:23], s[34:35]
	v_add_f64 v[14:15], v[14:15], -v[20:21]
	v_fma_f64 v[20:21], v[16:17], v[10:11], -v[24:25]
	s_delay_alu instid0(VALU_DEP_3) | instskip(NEXT) | instid1(VALU_DEP_3)
	v_add_f64 v[18:19], v[18:19], -v[26:27]
	v_add_f64 v[14:15], v[14:15], s[36:37]
	s_delay_alu instid0(VALU_DEP_3) | instskip(SKIP_1) | instid1(VALU_DEP_3)
	v_fma_f64 v[16:17], v[16:17], v[8:9], v[20:21]
	v_ldexp_f64 v[8:9], v[8:9], 1
	v_add_f64 v[14:15], v[14:15], v[18:19]
	s_delay_alu instid0(VALU_DEP_3) | instskip(SKIP_1) | instid1(VALU_DEP_3)
	v_fma_f64 v[12:13], v[12:13], v[10:11], v[16:17]
	v_ldexp_f64 v[10:11], v[10:11], 1
	v_add_f64 v[16:17], v[22:23], v[14:15]
	s_delay_alu instid0(VALU_DEP_3) | instskip(NEXT) | instid1(VALU_DEP_2)
	v_add_f64 v[18:19], v[24:25], v[12:13]
	v_add_f64 v[20:21], v[22:23], -v[16:17]
	s_delay_alu instid0(VALU_DEP_2) | instskip(SKIP_1) | instid1(VALU_DEP_3)
	v_mul_f64 v[22:23], v[18:19], v[16:17]
	v_add_f64 v[24:25], v[18:19], -v[24:25]
	v_add_f64 v[14:15], v[14:15], v[20:21]
	s_delay_alu instid0(VALU_DEP_3) | instskip(NEXT) | instid1(VALU_DEP_3)
	v_fma_f64 v[20:21], v[18:19], v[16:17], -v[22:23]
	v_add_f64 v[12:13], v[12:13], -v[24:25]
	s_delay_alu instid0(VALU_DEP_2) | instskip(NEXT) | instid1(VALU_DEP_1)
	v_fma_f64 v[14:15], v[18:19], v[14:15], v[20:21]
	v_fma_f64 v[12:13], v[12:13], v[16:17], v[14:15]
	v_frexp_exp_i32_f64_e32 v16, v[6:7]
	v_cndmask_b32_e64 v6, 0x7ff00000, 0, s6
	s_delay_alu instid0(VALU_DEP_3) | instskip(NEXT) | instid1(VALU_DEP_3)
	v_add_f64 v[14:15], v[22:23], v[12:13]
	v_subrev_co_ci_u32_e32 v16, vcc_lo, 0, v16, vcc_lo
	v_cmp_eq_f64_e32 vcc_lo, 1.0, v[4:5]
	s_delay_alu instid0(VALU_DEP_2) | instskip(NEXT) | instid1(VALU_DEP_4)
	v_cvt_f64_i32_e32 v[16:17], v16
	v_add_f64 v[18:19], v[10:11], v[14:15]
	v_add_f64 v[20:21], v[14:15], -v[22:23]
	s_delay_alu instid0(VALU_DEP_3) | instskip(NEXT) | instid1(VALU_DEP_3)
	v_mul_f64 v[22:23], v[16:17], s[38:39]
	v_add_f64 v[10:11], v[18:19], -v[10:11]
	s_delay_alu instid0(VALU_DEP_3) | instskip(NEXT) | instid1(VALU_DEP_3)
	v_add_f64 v[12:13], v[12:13], -v[20:21]
	v_fma_f64 v[20:21], v[16:17], s[38:39], -v[22:23]
	s_delay_alu instid0(VALU_DEP_3) | instskip(NEXT) | instid1(VALU_DEP_3)
	v_add_f64 v[10:11], v[14:15], -v[10:11]
	v_add_f64 v[8:9], v[8:9], v[12:13]
	s_delay_alu instid0(VALU_DEP_3) | instskip(NEXT) | instid1(VALU_DEP_2)
	v_fma_f64 v[12:13], v[16:17], s[40:41], v[20:21]
	v_add_f64 v[8:9], v[8:9], v[10:11]
	s_delay_alu instid0(VALU_DEP_2) | instskip(NEXT) | instid1(VALU_DEP_2)
	v_add_f64 v[10:11], v[22:23], v[12:13]
	v_add_f64 v[14:15], v[18:19], v[8:9]
	s_delay_alu instid0(VALU_DEP_2) | instskip(NEXT) | instid1(VALU_DEP_2)
	v_add_f64 v[22:23], v[10:11], -v[22:23]
	v_add_f64 v[16:17], v[10:11], v[14:15]
	v_add_f64 v[18:19], v[14:15], -v[18:19]
	s_delay_alu instid0(VALU_DEP_3) | instskip(NEXT) | instid1(VALU_DEP_3)
	v_add_f64 v[12:13], v[12:13], -v[22:23]
	v_add_f64 v[20:21], v[16:17], -v[10:11]
	s_delay_alu instid0(VALU_DEP_3) | instskip(NEXT) | instid1(VALU_DEP_2)
	v_add_f64 v[8:9], v[8:9], -v[18:19]
	v_add_f64 v[24:25], v[16:17], -v[20:21]
	;; [unrolled: 1-line block ×3, first 2 shown]
	s_delay_alu instid0(VALU_DEP_3) | instskip(NEXT) | instid1(VALU_DEP_3)
	v_add_f64 v[18:19], v[12:13], v[8:9]
	v_add_f64 v[10:11], v[10:11], -v[24:25]
	s_delay_alu instid0(VALU_DEP_1) | instskip(NEXT) | instid1(VALU_DEP_3)
	v_add_f64 v[10:11], v[14:15], v[10:11]
	v_add_f64 v[14:15], v[18:19], -v[12:13]
	s_delay_alu instid0(VALU_DEP_2) | instskip(NEXT) | instid1(VALU_DEP_2)
	v_add_f64 v[10:11], v[18:19], v[10:11]
	v_add_f64 v[18:19], v[18:19], -v[14:15]
	v_add_f64 v[8:9], v[8:9], -v[14:15]
	s_delay_alu instid0(VALU_DEP_3) | instskip(NEXT) | instid1(VALU_DEP_3)
	v_add_f64 v[20:21], v[16:17], v[10:11]
	v_add_f64 v[12:13], v[12:13], -v[18:19]
	s_delay_alu instid0(VALU_DEP_2) | instskip(NEXT) | instid1(VALU_DEP_2)
	v_add_f64 v[14:15], v[20:21], -v[16:17]
	v_add_f64 v[8:9], v[8:9], v[12:13]
	v_cndmask_b32_e32 v13, 0x3fdc71c7, v28, vcc_lo
	v_cndmask_b32_e64 v12, 0x1c71c71d, 0, vcc_lo
	s_delay_alu instid0(VALU_DEP_4) | instskip(NEXT) | instid1(VALU_DEP_1)
	v_add_f64 v[10:11], v[10:11], -v[14:15]
	v_add_f64 v[8:9], v[8:9], v[10:11]
	s_delay_alu instid0(VALU_DEP_1) | instskip(NEXT) | instid1(VALU_DEP_1)
	v_add_f64 v[10:11], v[20:21], v[8:9]
	v_add_f64 v[14:15], v[10:11], -v[20:21]
	v_mul_f64 v[16:17], v[12:13], v[10:11]
	s_delay_alu instid0(VALU_DEP_2) | instskip(NEXT) | instid1(VALU_DEP_2)
	v_add_f64 v[8:9], v[8:9], -v[14:15]
	v_fma_f64 v[10:11], v[12:13], v[10:11], -v[16:17]
	v_cmp_class_f64_e64 vcc_lo, v[16:17], 0x204
	s_delay_alu instid0(VALU_DEP_2) | instskip(NEXT) | instid1(VALU_DEP_1)
	v_fma_f64 v[8:9], v[12:13], v[8:9], v[10:11]
	v_add_f64 v[10:11], v[16:17], v[8:9]
	s_delay_alu instid0(VALU_DEP_1) | instskip(SKIP_1) | instid1(VALU_DEP_2)
	v_dual_cndmask_b32 v15, v11, v17 :: v_dual_cndmask_b32 v14, v10, v16
	v_add_f64 v[10:11], v[10:11], -v[16:17]
	v_mul_f64 v[18:19], v[14:15], s[42:43]
	v_cmp_lt_f64_e32 vcc_lo, 0x40900000, v[14:15]
	s_delay_alu instid0(VALU_DEP_3) | instskip(NEXT) | instid1(VALU_DEP_3)
	v_add_f64 v[8:9], v[8:9], -v[10:11]
	v_rndne_f64_e32 v[18:19], v[18:19]
	s_delay_alu instid0(VALU_DEP_1) | instskip(SKIP_1) | instid1(VALU_DEP_2)
	v_fma_f64 v[20:21], v[18:19], s[44:45], v[14:15]
	v_cvt_i32_f64_e32 v24, v[18:19]
	v_fma_f64 v[20:21], v[18:19], s[46:47], v[20:21]
	s_delay_alu instid0(VALU_DEP_1) | instskip(NEXT) | instid1(VALU_DEP_1)
	v_fma_f64 v[22:23], v[20:21], s[50:51], s[48:49]
	v_fma_f64 v[22:23], v[20:21], v[22:23], s[52:53]
	s_delay_alu instid0(VALU_DEP_1) | instskip(NEXT) | instid1(VALU_DEP_1)
	v_fma_f64 v[22:23], v[20:21], v[22:23], s[54:55]
	;; [unrolled: 3-line block ×5, first 2 shown]
	v_fma_f64 v[22:23], v[20:21], v[22:23], 1.0
	s_delay_alu instid0(VALU_DEP_1) | instskip(SKIP_1) | instid1(VALU_DEP_2)
	v_fma_f64 v[18:19], v[20:21], v[22:23], 1.0
	v_mul_f64 v[20:21], v[12:13], 0.5
	v_ldexp_f64 v[16:17], v[18:19], v24
	v_trunc_f64_e32 v[18:19], v[12:13]
	s_delay_alu instid0(VALU_DEP_3) | instskip(NEXT) | instid1(VALU_DEP_3)
	v_trunc_f64_e32 v[22:23], v[20:21]
	v_cndmask_b32_e64 v11, v17, 0x7ff00000, vcc_lo
	v_and_b32_e32 v17, 0x7fffffff, v17
	v_cmp_neq_f64_e64 s0, 0x7ff00000, |v[14:15]|
	v_cmp_ngt_f64_e64 s1, 0xc090cc00, v[14:15]
	v_cndmask_b32_e64 v10, v16, 0, vcc_lo
	v_cmp_eq_f64_e64 s3, v[18:19], v[12:13]
	v_cmp_neq_f64_e64 s4, v[22:23], v[20:21]
	v_cndmask_b32_e64 v9, 0, v9, s0
	v_cndmask_b32_e64 v8, 0, v8, s0
	v_cndmask_b32_e64 v11, 0, v11, s1
	v_cndmask_b32_e64 v10, 0, v10, s1
	v_cmp_eq_f64_e64 s0, 0x7ff00000, v[16:17]
	s_and_b32 s3, s3, s4
	s_delay_alu instid0(SALU_CYCLE_1) | instskip(NEXT) | instid1(VALU_DEP_3)
	v_cndmask_b32_e64 v7, 0x3ff00000, v5, s3
	v_fma_f64 v[8:9], v[10:11], v[8:9], v[10:11]
	v_cndmask_b32_e64 v12, 0, v5, s3
	s_delay_alu instid0(VALU_DEP_4) | instskip(NEXT) | instid1(SALU_CYCLE_1)
	s_or_b32 s0, vcc_lo, s0
	s_and_b32 vcc_lo, s1, s0
	s_mov_b32 s0, 0x66666666
	s_delay_alu instid0(VALU_DEP_2) | instskip(SKIP_3) | instid1(VALU_DEP_2)
	v_dual_cndmask_b32 v9, v9, v11 :: v_dual_cndmask_b32 v8, v8, v10
	v_bfi_b32 v10, 0x7fffffff, v6, v12
	s_or_b32 vcc_lo, s6, s5
	s_mov_b32 s1, 0x3fd66666
	v_bfi_b32 v7, 0x7fffffff, v9, v7
	v_cndmask_b32_e64 v6, v8, 0, vcc_lo
	s_delay_alu instid0(VALU_DEP_2) | instskip(NEXT) | instid1(VALU_DEP_1)
	v_cndmask_b32_e32 v7, v7, v10, vcc_lo
	v_div_scale_f64 v[8:9], null, v[6:7], v[6:7], s[0:1]
	v_div_scale_f64 v[14:15], vcc_lo, s[0:1], v[6:7], s[0:1]
	s_delay_alu instid0(VALU_DEP_2) | instskip(SKIP_2) | instid1(VALU_DEP_1)
	v_rcp_f64_e32 v[10:11], v[8:9]
	s_waitcnt_depctr 0xfff
	v_fma_f64 v[12:13], -v[8:9], v[10:11], 1.0
	v_fma_f64 v[10:11], v[10:11], v[12:13], v[10:11]
	s_delay_alu instid0(VALU_DEP_1) | instskip(NEXT) | instid1(VALU_DEP_1)
	v_fma_f64 v[12:13], -v[8:9], v[10:11], 1.0
	v_fma_f64 v[10:11], v[10:11], v[12:13], v[10:11]
	s_delay_alu instid0(VALU_DEP_1) | instskip(NEXT) | instid1(VALU_DEP_1)
	v_mul_f64 v[12:13], v[14:15], v[10:11]
	v_fma_f64 v[8:9], -v[8:9], v[12:13], v[14:15]
	s_delay_alu instid0(VALU_DEP_1) | instskip(SKIP_1) | instid1(VALU_DEP_2)
	v_div_fmas_f64 v[8:9], v[8:9], v[10:11], v[12:13]
	v_cmp_o_f64_e32 vcc_lo, v[4:5], v[4:5]
	v_div_fixup_f64 v[6:7], v[8:9], v[6:7], s[0:1]
	s_mov_b32 s0, 0x9999999a
	s_mov_b32 s1, 0x3fb99999
	s_delay_alu instid0(VALU_DEP_1) | instid1(SALU_CYCLE_1)
	v_add_f64 v[6:7], v[6:7], s[0:1]
	s_delay_alu instid0(VALU_DEP_1) | instskip(NEXT) | instid1(VALU_DEP_2)
	v_cndmask_b32_e32 v7, 0x7ff80000, v7, vcc_lo
	v_cndmask_b32_e32 v6, 0, v6, vcc_lo
.LBB0_3:
	s_or_b32 exec_lo, exec_lo, s33
	s_mov_b32 s0, 0x9999999a
	s_mov_b32 s1, 0xbfb99999
	;; [unrolled: 1-line block ×3, first 2 shown]
	v_add_f64 v[4:5], v[6:7], s[0:1]
	s_mov_b32 s16, 0x66666666
	s_mov_b32 s18, 0x55555555
	;; [unrolled: 1-line block ×37, first 2 shown]
	v_div_scale_f64 v[8:9], null, s[16:17], s[16:17], v[4:5]
	v_div_scale_f64 v[14:15], vcc_lo, v[4:5], s[16:17], v[4:5]
	s_mov_b32 s55, 0x3e928af3
	s_mov_b32 s57, 0x3e5ade15
	;; [unrolled: 1-line block ×18, first 2 shown]
	s_delay_alu instid0(VALU_DEP_2) | instskip(SKIP_2) | instid1(VALU_DEP_1)
	v_rcp_f64_e32 v[10:11], v[8:9]
	s_waitcnt_depctr 0xfff
	v_fma_f64 v[12:13], -v[8:9], v[10:11], 1.0
	v_fma_f64 v[10:11], v[10:11], v[12:13], v[10:11]
	s_delay_alu instid0(VALU_DEP_1) | instskip(NEXT) | instid1(VALU_DEP_1)
	v_fma_f64 v[12:13], -v[8:9], v[10:11], 1.0
	v_fma_f64 v[10:11], v[10:11], v[12:13], v[10:11]
	s_delay_alu instid0(VALU_DEP_1) | instskip(NEXT) | instid1(VALU_DEP_1)
	v_mul_f64 v[12:13], v[14:15], v[10:11]
	v_fma_f64 v[8:9], -v[8:9], v[12:13], v[14:15]
	s_delay_alu instid0(VALU_DEP_1) | instskip(NEXT) | instid1(VALU_DEP_1)
	v_div_fmas_f64 v[8:9], v[8:9], v[10:11], v[12:13]
	v_div_fixup_f64 v[8:9], v[8:9], s[16:17], v[4:5]
	s_delay_alu instid0(VALU_DEP_1) | instskip(SKIP_2) | instid1(VALU_DEP_3)
	v_frexp_mant_f64_e64 v[10:11], |v[8:9]|
	v_frexp_exp_i32_f64_e32 v5, v[8:9]
	v_cmp_class_f64_e64 s3, v[8:9], 0x204
	v_cmp_gt_f64_e32 vcc_lo, s[18:19], v[10:11]
	v_cndmask_b32_e64 v13, 0x3ff00000, 2.0, vcc_lo
	s_delay_alu instid0(VALU_DEP_4) | instskip(SKIP_2) | instid1(VALU_DEP_1)
	v_subrev_co_ci_u32_e32 v5, vcc_lo, 0, v5, vcc_lo
	v_cmp_eq_f64_e32 vcc_lo, 1.0, v[8:9]
	v_mov_b32_e32 v4, 0
	v_mov_b32_e32 v12, v4
	s_delay_alu instid0(VALU_DEP_1) | instskip(NEXT) | instid1(VALU_DEP_1)
	v_mul_f64 v[10:11], v[10:11], v[12:13]
	v_add_f64 v[12:13], v[10:11], 1.0
	v_add_f64 v[18:19], v[10:11], -1.0
	s_delay_alu instid0(VALU_DEP_2) | instskip(SKIP_1) | instid1(VALU_DEP_1)
	v_rcp_f64_e32 v[14:15], v[12:13]
	v_add_f64 v[20:21], v[12:13], -1.0
	v_add_f64 v[10:11], v[10:11], -v[20:21]
	s_waitcnt_depctr 0xfff
	v_fma_f64 v[16:17], -v[12:13], v[14:15], 1.0
	s_delay_alu instid0(VALU_DEP_1) | instskip(NEXT) | instid1(VALU_DEP_1)
	v_fma_f64 v[14:15], v[16:17], v[14:15], v[14:15]
	v_fma_f64 v[16:17], -v[12:13], v[14:15], 1.0
	s_delay_alu instid0(VALU_DEP_1) | instskip(NEXT) | instid1(VALU_DEP_1)
	v_fma_f64 v[14:15], v[16:17], v[14:15], v[14:15]
	v_mul_f64 v[16:17], v[18:19], v[14:15]
	s_delay_alu instid0(VALU_DEP_1) | instskip(NEXT) | instid1(VALU_DEP_1)
	v_mul_f64 v[22:23], v[12:13], v[16:17]
	v_fma_f64 v[12:13], v[16:17], v[12:13], -v[22:23]
	s_delay_alu instid0(VALU_DEP_1) | instskip(NEXT) | instid1(VALU_DEP_1)
	v_fma_f64 v[10:11], v[16:17], v[10:11], v[12:13]
	v_add_f64 v[12:13], v[22:23], v[10:11]
	s_delay_alu instid0(VALU_DEP_1) | instskip(SKIP_1) | instid1(VALU_DEP_2)
	v_add_f64 v[20:21], v[18:19], -v[12:13]
	v_add_f64 v[22:23], v[12:13], -v[22:23]
	;; [unrolled: 1-line block ×3, first 2 shown]
	s_delay_alu instid0(VALU_DEP_2) | instskip(NEXT) | instid1(VALU_DEP_2)
	v_add_f64 v[10:11], v[22:23], -v[10:11]
	v_add_f64 v[12:13], v[18:19], -v[12:13]
	s_delay_alu instid0(VALU_DEP_1) | instskip(NEXT) | instid1(VALU_DEP_1)
	v_add_f64 v[10:11], v[10:11], v[12:13]
	v_add_f64 v[10:11], v[20:21], v[10:11]
	s_delay_alu instid0(VALU_DEP_1) | instskip(NEXT) | instid1(VALU_DEP_1)
	v_mul_f64 v[10:11], v[14:15], v[10:11]
	v_add_f64 v[12:13], v[16:17], v[10:11]
	s_delay_alu instid0(VALU_DEP_1) | instskip(SKIP_1) | instid1(VALU_DEP_2)
	v_add_f64 v[14:15], v[12:13], -v[16:17]
	v_mul_f64 v[16:17], v[12:13], v[12:13]
	v_add_f64 v[10:11], v[10:11], -v[14:15]
	s_delay_alu instid0(VALU_DEP_2) | instskip(NEXT) | instid1(VALU_DEP_2)
	v_fma_f64 v[14:15], v[12:13], v[12:13], -v[16:17]
	v_add_f64 v[18:19], v[10:11], v[10:11]
	s_delay_alu instid0(VALU_DEP_1) | instskip(NEXT) | instid1(VALU_DEP_1)
	v_fma_f64 v[14:15], v[12:13], v[18:19], v[14:15]
	v_add_f64 v[18:19], v[16:17], v[14:15]
	s_delay_alu instid0(VALU_DEP_1) | instskip(SKIP_2) | instid1(VALU_DEP_3)
	v_fma_f64 v[20:21], v[18:19], s[22:23], s[20:21]
	v_add_f64 v[16:17], v[18:19], -v[16:17]
	v_mul_f64 v[26:27], v[12:13], v[18:19]
	v_fma_f64 v[20:21], v[18:19], v[20:21], s[24:25]
	s_delay_alu instid0(VALU_DEP_3) | instskip(NEXT) | instid1(VALU_DEP_2)
	v_add_f64 v[14:15], v[14:15], -v[16:17]
	v_fma_f64 v[20:21], v[18:19], v[20:21], s[26:27]
	s_delay_alu instid0(VALU_DEP_1) | instskip(NEXT) | instid1(VALU_DEP_1)
	v_fma_f64 v[20:21], v[18:19], v[20:21], s[28:29]
	v_fma_f64 v[20:21], v[18:19], v[20:21], s[30:31]
	s_delay_alu instid0(VALU_DEP_1) | instskip(NEXT) | instid1(VALU_DEP_1)
	v_fma_f64 v[20:21], v[18:19], v[20:21], s[34:35]
	;; [unrolled: 3-line block ×3, first 2 shown]
	v_mul_f64 v[22:23], v[18:19], v[20:21]
	s_delay_alu instid0(VALU_DEP_1) | instskip(NEXT) | instid1(VALU_DEP_1)
	v_fma_f64 v[16:17], v[18:19], v[20:21], -v[22:23]
	v_fma_f64 v[16:17], v[14:15], v[20:21], v[16:17]
	s_delay_alu instid0(VALU_DEP_1) | instskip(NEXT) | instid1(VALU_DEP_1)
	v_add_f64 v[20:21], v[22:23], v[16:17]
	v_add_f64 v[24:25], v[20:21], s[18:19]
	v_add_f64 v[22:23], v[20:21], -v[22:23]
	s_delay_alu instid0(VALU_DEP_2) | instskip(NEXT) | instid1(VALU_DEP_2)
	v_add_f64 v[28:29], v[24:25], s[40:41]
	v_add_f64 v[16:17], v[16:17], -v[22:23]
	v_fma_f64 v[22:23], v[18:19], v[12:13], -v[26:27]
	s_delay_alu instid0(VALU_DEP_3) | instskip(NEXT) | instid1(VALU_DEP_3)
	v_add_f64 v[20:21], v[20:21], -v[28:29]
	v_add_f64 v[16:17], v[16:17], s[42:43]
	s_delay_alu instid0(VALU_DEP_3) | instskip(SKIP_1) | instid1(VALU_DEP_3)
	v_fma_f64 v[18:19], v[18:19], v[10:11], v[22:23]
	v_ldexp_f64 v[10:11], v[10:11], 1
	v_add_f64 v[16:17], v[16:17], v[20:21]
	s_delay_alu instid0(VALU_DEP_3) | instskip(SKIP_1) | instid1(VALU_DEP_3)
	v_fma_f64 v[14:15], v[14:15], v[12:13], v[18:19]
	v_ldexp_f64 v[12:13], v[12:13], 1
	v_add_f64 v[18:19], v[24:25], v[16:17]
	s_delay_alu instid0(VALU_DEP_3) | instskip(NEXT) | instid1(VALU_DEP_2)
	v_add_f64 v[20:21], v[26:27], v[14:15]
	v_add_f64 v[22:23], v[24:25], -v[18:19]
	s_delay_alu instid0(VALU_DEP_2) | instskip(SKIP_1) | instid1(VALU_DEP_3)
	v_mul_f64 v[24:25], v[20:21], v[18:19]
	v_add_f64 v[26:27], v[20:21], -v[26:27]
	v_add_f64 v[16:17], v[16:17], v[22:23]
	s_delay_alu instid0(VALU_DEP_3) | instskip(NEXT) | instid1(VALU_DEP_3)
	v_fma_f64 v[22:23], v[20:21], v[18:19], -v[24:25]
	v_add_f64 v[14:15], v[14:15], -v[26:27]
	s_delay_alu instid0(VALU_DEP_2) | instskip(NEXT) | instid1(VALU_DEP_1)
	v_fma_f64 v[16:17], v[20:21], v[16:17], v[22:23]
	v_fma_f64 v[14:15], v[14:15], v[18:19], v[16:17]
	v_cvt_f64_i32_e32 v[18:19], v5
	s_delay_alu instid0(VALU_DEP_2) | instskip(NEXT) | instid1(VALU_DEP_1)
	v_add_f64 v[16:17], v[24:25], v[14:15]
	v_add_f64 v[20:21], v[12:13], v[16:17]
	v_add_f64 v[22:23], v[16:17], -v[24:25]
	s_delay_alu instid0(VALU_DEP_4) | instskip(NEXT) | instid1(VALU_DEP_3)
	v_mul_f64 v[24:25], v[18:19], s[44:45]
	v_add_f64 v[12:13], v[20:21], -v[12:13]
	s_delay_alu instid0(VALU_DEP_3) | instskip(NEXT) | instid1(VALU_DEP_3)
	v_add_f64 v[14:15], v[14:15], -v[22:23]
	v_fma_f64 v[22:23], v[18:19], s[44:45], -v[24:25]
	s_delay_alu instid0(VALU_DEP_3) | instskip(NEXT) | instid1(VALU_DEP_3)
	v_add_f64 v[12:13], v[16:17], -v[12:13]
	v_add_f64 v[10:11], v[10:11], v[14:15]
	s_delay_alu instid0(VALU_DEP_3) | instskip(NEXT) | instid1(VALU_DEP_2)
	v_fma_f64 v[14:15], v[18:19], s[48:49], v[22:23]
	v_add_f64 v[10:11], v[10:11], v[12:13]
	s_delay_alu instid0(VALU_DEP_2) | instskip(NEXT) | instid1(VALU_DEP_2)
	v_add_f64 v[12:13], v[24:25], v[14:15]
	v_add_f64 v[16:17], v[20:21], v[10:11]
	s_delay_alu instid0(VALU_DEP_2) | instskip(NEXT) | instid1(VALU_DEP_2)
	v_add_f64 v[24:25], v[12:13], -v[24:25]
	v_add_f64 v[18:19], v[12:13], v[16:17]
	v_add_f64 v[20:21], v[16:17], -v[20:21]
	s_delay_alu instid0(VALU_DEP_3) | instskip(NEXT) | instid1(VALU_DEP_3)
	v_add_f64 v[14:15], v[14:15], -v[24:25]
	v_add_f64 v[22:23], v[18:19], -v[12:13]
	s_delay_alu instid0(VALU_DEP_3) | instskip(NEXT) | instid1(VALU_DEP_2)
	v_add_f64 v[10:11], v[10:11], -v[20:21]
	v_add_f64 v[26:27], v[18:19], -v[22:23]
	;; [unrolled: 1-line block ×3, first 2 shown]
	s_delay_alu instid0(VALU_DEP_3) | instskip(NEXT) | instid1(VALU_DEP_3)
	v_add_f64 v[20:21], v[14:15], v[10:11]
	v_add_f64 v[12:13], v[12:13], -v[26:27]
	s_delay_alu instid0(VALU_DEP_1) | instskip(NEXT) | instid1(VALU_DEP_3)
	v_add_f64 v[12:13], v[16:17], v[12:13]
	v_add_f64 v[16:17], v[20:21], -v[14:15]
	s_delay_alu instid0(VALU_DEP_2) | instskip(NEXT) | instid1(VALU_DEP_2)
	v_add_f64 v[12:13], v[20:21], v[12:13]
	v_add_f64 v[20:21], v[20:21], -v[16:17]
	v_add_f64 v[10:11], v[10:11], -v[16:17]
	s_delay_alu instid0(VALU_DEP_3) | instskip(NEXT) | instid1(VALU_DEP_3)
	v_add_f64 v[22:23], v[18:19], v[12:13]
	v_add_f64 v[14:15], v[14:15], -v[20:21]
	s_delay_alu instid0(VALU_DEP_2) | instskip(NEXT) | instid1(VALU_DEP_2)
	v_add_f64 v[16:17], v[22:23], -v[18:19]
	v_add_f64 v[10:11], v[10:11], v[14:15]
	s_delay_alu instid0(VALU_DEP_2) | instskip(NEXT) | instid1(VALU_DEP_1)
	v_add_f64 v[12:13], v[12:13], -v[16:17]
	v_add_f64 v[11:12], v[10:11], v[12:13]
	v_mov_b32_e32 v10, 0x3ff00000
	s_delay_alu instid0(VALU_DEP_1) | instskip(NEXT) | instid1(VALU_DEP_3)
	v_cndmask_b32_e32 v5, 0x40020000, v10, vcc_lo
	v_add_f64 v[13:14], v[22:23], v[11:12]
	s_delay_alu instid0(VALU_DEP_1) | instskip(NEXT) | instid1(VALU_DEP_3)
	v_add_f64 v[15:16], v[13:14], -v[22:23]
	v_mul_f64 v[17:18], v[4:5], v[13:14]
	s_delay_alu instid0(VALU_DEP_2) | instskip(NEXT) | instid1(VALU_DEP_2)
	v_add_f64 v[11:12], v[11:12], -v[15:16]
	v_fma_f64 v[13:14], v[4:5], v[13:14], -v[17:18]
	v_cmp_class_f64_e64 vcc_lo, v[17:18], 0x204
	s_delay_alu instid0(VALU_DEP_2) | instskip(NEXT) | instid1(VALU_DEP_1)
	v_fma_f64 v[11:12], v[4:5], v[11:12], v[13:14]
	v_add_f64 v[13:14], v[17:18], v[11:12]
	s_delay_alu instid0(VALU_DEP_1) | instskip(SKIP_1) | instid1(VALU_DEP_2)
	v_dual_cndmask_b32 v16, v14, v18 :: v_dual_cndmask_b32 v15, v13, v17
	v_add_f64 v[13:14], v[13:14], -v[17:18]
	v_mul_f64 v[19:20], v[15:16], s[46:47]
	v_cmp_lt_f64_e32 vcc_lo, 0x40900000, v[15:16]
	v_cmp_neq_f64_e64 s0, 0x7ff00000, |v[15:16]|
	v_cmp_ngt_f64_e64 s1, 0xc090cc00, v[15:16]
	v_add_f64 v[11:12], v[11:12], -v[13:14]
	v_mul_f64 v[13:14], v[4:5], 0.5
	v_rndne_f64_e32 v[19:20], v[19:20]
	s_delay_alu instid0(VALU_DEP_3) | instskip(NEXT) | instid1(VALU_DEP_4)
	v_cndmask_b32_e64 v12, 0, v12, s0
	v_cndmask_b32_e64 v11, 0, v11, s0
	s_delay_alu instid0(VALU_DEP_3) | instskip(SKIP_1) | instid1(VALU_DEP_2)
	v_fma_f64 v[21:22], v[19:20], s[50:51], v[15:16]
	v_cvt_i32_f64_e32 v25, v[19:20]
	v_fma_f64 v[21:22], v[19:20], s[52:53], v[21:22]
	s_delay_alu instid0(VALU_DEP_1) | instskip(NEXT) | instid1(VALU_DEP_1)
	v_fma_f64 v[23:24], v[21:22], s[56:57], s[54:55]
	v_fma_f64 v[23:24], v[21:22], v[23:24], s[58:59]
	s_delay_alu instid0(VALU_DEP_1) | instskip(NEXT) | instid1(VALU_DEP_1)
	v_fma_f64 v[23:24], v[21:22], v[23:24], s[60:61]
	;; [unrolled: 3-line block ×5, first 2 shown]
	v_fma_f64 v[23:24], v[21:22], v[23:24], 1.0
	s_delay_alu instid0(VALU_DEP_1) | instskip(NEXT) | instid1(VALU_DEP_1)
	v_fma_f64 v[19:20], v[21:22], v[23:24], 1.0
	v_ldexp_f64 v[17:18], v[19:20], v25
	s_delay_alu instid0(VALU_DEP_1) | instskip(SKIP_1) | instid1(VALU_DEP_3)
	v_cndmask_b32_e64 v20, v18, 0x7ff00000, vcc_lo
	v_and_b32_e32 v18, 0x7fffffff, v18
	v_cndmask_b32_e64 v19, v17, 0, vcc_lo
	s_delay_alu instid0(VALU_DEP_3) | instskip(NEXT) | instid1(VALU_DEP_3)
	v_cndmask_b32_e64 v16, 0, v20, s1
	v_cmp_eq_f64_e64 s0, 0x7ff00000, v[17:18]
	s_delay_alu instid0(VALU_DEP_3) | instskip(SKIP_2) | instid1(VALU_DEP_3)
	v_cndmask_b32_e64 v15, 0, v19, s1
	v_trunc_f64_e32 v[17:18], v[13:14]
	v_trunc_f64_e32 v[19:20], v[4:5]
	v_fma_f64 v[11:12], v[15:16], v[11:12], v[15:16]
	s_or_b32 s0, vcc_lo, s0
	s_delay_alu instid0(VALU_DEP_3) | instskip(SKIP_1) | instid1(VALU_DEP_3)
	v_cmp_neq_f64_e32 vcc_lo, v[17:18], v[13:14]
	s_and_b32 s0, s1, s0
	v_cmp_eq_f64_e64 s1, v[19:20], v[4:5]
	s_delay_alu instid0(VALU_DEP_3) | instskip(NEXT) | instid1(VALU_DEP_4)
	v_cndmask_b32_e64 v5, v12, v16, s0
	v_cndmask_b32_e64 v11, v11, v15, s0
	v_cmp_gt_f64_e64 s0, 0, v[8:9]
	s_delay_alu instid0(VALU_DEP_4) | instskip(NEXT) | instid1(VALU_DEP_2)
	s_and_b32 vcc_lo, s1, vcc_lo
	v_cndmask_b32_e64 v12, 0, v11, s1
	v_cndmask_b32_e32 v13, 0x3ff00000, v9, vcc_lo
	v_cndmask_b32_e32 v15, 0, v9, vcc_lo
	s_delay_alu instid0(VALU_DEP_3) | instskip(NEXT) | instid1(VALU_DEP_3)
	v_cndmask_b32_e64 v11, v11, v12, s0
	v_bfi_b32 v5, 0x7fffffff, v5, v13
	s_delay_alu instid0(VALU_DEP_1) | instskip(SKIP_1) | instid1(VALU_DEP_2)
	v_cndmask_b32_e64 v13, 0x7ff80000, v5, s1
	v_cmp_eq_f64_e64 s1, 0, v[8:9]
	v_cndmask_b32_e64 v5, v5, v13, s0
	s_delay_alu instid0(VALU_DEP_2) | instskip(SKIP_1) | instid1(SALU_CYCLE_1)
	v_cndmask_b32_e64 v14, 0x7ff00000, 0, s1
	s_or_b32 vcc_lo, s1, s3
	v_cndmask_b32_e64 v11, v11, 0, vcc_lo
	s_delay_alu instid0(VALU_DEP_2) | instskip(NEXT) | instid1(VALU_DEP_1)
	v_bfi_b32 v12, 0x7fffffff, v14, v15
	v_cndmask_b32_e32 v12, v5, v12, vcc_lo
	v_cmp_o_f64_e32 vcc_lo, v[8:9], v[8:9]
	s_delay_alu instid0(VALU_DEP_2) | instskip(NEXT) | instid1(VALU_DEP_1)
	v_add_f64 v[11:12], -v[11:12], 1.0
	v_cndmask_b32_e32 v12, 0x7ff80000, v12, vcc_lo
	s_delay_alu instid0(VALU_DEP_2) | instskip(NEXT) | instid1(VALU_DEP_1)
	v_cndmask_b32_e32 v11, 0, v11, vcc_lo
	v_frexp_mant_f64_e64 v[13:14], |v[11:12]|
	s_delay_alu instid0(VALU_DEP_1) | instskip(SKIP_1) | instid1(VALU_DEP_1)
	v_cmp_gt_f64_e32 vcc_lo, s[18:19], v[13:14]
	v_cndmask_b32_e64 v5, 0x3ff00000, 2.0, vcc_lo
	v_mul_f64 v[13:14], v[13:14], v[4:5]
	v_frexp_exp_i32_f64_e32 v5, v[11:12]
	s_delay_alu instid0(VALU_DEP_2) | instskip(SKIP_1) | instid1(VALU_DEP_3)
	v_add_f64 v[15:16], v[13:14], 1.0
	v_add_f64 v[21:22], v[13:14], -1.0
	v_subrev_co_ci_u32_e32 v5, vcc_lo, 0, v5, vcc_lo
	v_cmp_eq_f64_e32 vcc_lo, 1.0, v[11:12]
	s_delay_alu instid0(VALU_DEP_4) | instskip(SKIP_1) | instid1(VALU_DEP_1)
	v_rcp_f64_e32 v[17:18], v[15:16]
	v_add_f64 v[23:24], v[15:16], -1.0
	v_add_f64 v[13:14], v[13:14], -v[23:24]
	s_waitcnt_depctr 0xfff
	v_fma_f64 v[19:20], -v[15:16], v[17:18], 1.0
	s_delay_alu instid0(VALU_DEP_1) | instskip(NEXT) | instid1(VALU_DEP_1)
	v_fma_f64 v[17:18], v[19:20], v[17:18], v[17:18]
	v_fma_f64 v[19:20], -v[15:16], v[17:18], 1.0
	s_delay_alu instid0(VALU_DEP_1) | instskip(NEXT) | instid1(VALU_DEP_1)
	v_fma_f64 v[17:18], v[19:20], v[17:18], v[17:18]
	v_mul_f64 v[19:20], v[21:22], v[17:18]
	s_delay_alu instid0(VALU_DEP_1) | instskip(NEXT) | instid1(VALU_DEP_1)
	v_mul_f64 v[25:26], v[15:16], v[19:20]
	v_fma_f64 v[15:16], v[19:20], v[15:16], -v[25:26]
	s_delay_alu instid0(VALU_DEP_1) | instskip(NEXT) | instid1(VALU_DEP_1)
	v_fma_f64 v[13:14], v[19:20], v[13:14], v[15:16]
	v_add_f64 v[15:16], v[25:26], v[13:14]
	s_delay_alu instid0(VALU_DEP_1) | instskip(SKIP_1) | instid1(VALU_DEP_2)
	v_add_f64 v[23:24], v[21:22], -v[15:16]
	v_add_f64 v[25:26], v[15:16], -v[25:26]
	;; [unrolled: 1-line block ×3, first 2 shown]
	s_delay_alu instid0(VALU_DEP_2) | instskip(NEXT) | instid1(VALU_DEP_2)
	v_add_f64 v[13:14], v[25:26], -v[13:14]
	v_add_f64 v[15:16], v[21:22], -v[15:16]
	s_delay_alu instid0(VALU_DEP_1) | instskip(NEXT) | instid1(VALU_DEP_1)
	v_add_f64 v[13:14], v[13:14], v[15:16]
	v_add_f64 v[13:14], v[23:24], v[13:14]
	s_delay_alu instid0(VALU_DEP_1) | instskip(NEXT) | instid1(VALU_DEP_1)
	v_mul_f64 v[13:14], v[17:18], v[13:14]
	v_add_f64 v[15:16], v[19:20], v[13:14]
	s_delay_alu instid0(VALU_DEP_1) | instskip(SKIP_1) | instid1(VALU_DEP_2)
	v_add_f64 v[17:18], v[15:16], -v[19:20]
	v_mul_f64 v[19:20], v[15:16], v[15:16]
	v_add_f64 v[13:14], v[13:14], -v[17:18]
	s_delay_alu instid0(VALU_DEP_2) | instskip(NEXT) | instid1(VALU_DEP_2)
	v_fma_f64 v[17:18], v[15:16], v[15:16], -v[19:20]
	v_add_f64 v[21:22], v[13:14], v[13:14]
	s_delay_alu instid0(VALU_DEP_1) | instskip(NEXT) | instid1(VALU_DEP_1)
	v_fma_f64 v[17:18], v[15:16], v[21:22], v[17:18]
	v_add_f64 v[21:22], v[19:20], v[17:18]
	s_delay_alu instid0(VALU_DEP_1) | instskip(SKIP_2) | instid1(VALU_DEP_3)
	v_fma_f64 v[23:24], v[21:22], s[22:23], s[20:21]
	v_add_f64 v[19:20], v[21:22], -v[19:20]
	v_mul_f64 v[29:30], v[15:16], v[21:22]
	v_fma_f64 v[23:24], v[21:22], v[23:24], s[24:25]
	s_delay_alu instid0(VALU_DEP_3) | instskip(NEXT) | instid1(VALU_DEP_2)
	v_add_f64 v[17:18], v[17:18], -v[19:20]
	v_fma_f64 v[23:24], v[21:22], v[23:24], s[26:27]
	s_delay_alu instid0(VALU_DEP_1) | instskip(NEXT) | instid1(VALU_DEP_1)
	v_fma_f64 v[23:24], v[21:22], v[23:24], s[28:29]
	v_fma_f64 v[23:24], v[21:22], v[23:24], s[30:31]
	s_delay_alu instid0(VALU_DEP_1) | instskip(NEXT) | instid1(VALU_DEP_1)
	v_fma_f64 v[23:24], v[21:22], v[23:24], s[34:35]
	;; [unrolled: 3-line block ×3, first 2 shown]
	v_mul_f64 v[25:26], v[21:22], v[23:24]
	s_delay_alu instid0(VALU_DEP_1) | instskip(NEXT) | instid1(VALU_DEP_1)
	v_fma_f64 v[19:20], v[21:22], v[23:24], -v[25:26]
	v_fma_f64 v[19:20], v[17:18], v[23:24], v[19:20]
	s_delay_alu instid0(VALU_DEP_1) | instskip(NEXT) | instid1(VALU_DEP_1)
	v_add_f64 v[23:24], v[25:26], v[19:20]
	v_add_f64 v[27:28], v[23:24], s[18:19]
	v_add_f64 v[25:26], v[23:24], -v[25:26]
	s_delay_alu instid0(VALU_DEP_2) | instskip(NEXT) | instid1(VALU_DEP_2)
	v_add_f64 v[31:32], v[27:28], s[40:41]
	v_add_f64 v[19:20], v[19:20], -v[25:26]
	v_fma_f64 v[25:26], v[21:22], v[15:16], -v[29:30]
	s_delay_alu instid0(VALU_DEP_3) | instskip(NEXT) | instid1(VALU_DEP_3)
	v_add_f64 v[23:24], v[23:24], -v[31:32]
	v_add_f64 v[19:20], v[19:20], s[42:43]
	s_delay_alu instid0(VALU_DEP_3) | instskip(SKIP_2) | instid1(VALU_DEP_1)
	v_fma_f64 v[21:22], v[21:22], v[13:14], v[25:26]
	v_ldexp_f64 v[13:14], v[13:14], 1
	v_add_co_u32 v31, s0, s8, v0
	v_add_co_ci_u32_e64 v32, s0, s9, v1, s0
	global_load_b64 v[31:32], v[31:32], off
	v_add_f64 v[19:20], v[19:20], v[23:24]
	v_fma_f64 v[17:18], v[17:18], v[15:16], v[21:22]
	v_ldexp_f64 v[15:16], v[15:16], 1
	s_delay_alu instid0(VALU_DEP_3) | instskip(NEXT) | instid1(VALU_DEP_3)
	v_add_f64 v[21:22], v[27:28], v[19:20]
	v_add_f64 v[23:24], v[29:30], v[17:18]
	s_delay_alu instid0(VALU_DEP_2) | instskip(NEXT) | instid1(VALU_DEP_2)
	v_add_f64 v[25:26], v[27:28], -v[21:22]
	v_mul_f64 v[27:28], v[23:24], v[21:22]
	v_add_f64 v[29:30], v[23:24], -v[29:30]
	s_delay_alu instid0(VALU_DEP_3) | instskip(NEXT) | instid1(VALU_DEP_3)
	v_add_f64 v[19:20], v[19:20], v[25:26]
	v_fma_f64 v[25:26], v[23:24], v[21:22], -v[27:28]
	s_delay_alu instid0(VALU_DEP_3) | instskip(NEXT) | instid1(VALU_DEP_2)
	v_add_f64 v[17:18], v[17:18], -v[29:30]
	v_fma_f64 v[19:20], v[23:24], v[19:20], v[25:26]
	s_delay_alu instid0(VALU_DEP_1) | instskip(SKIP_1) | instid1(VALU_DEP_2)
	v_fma_f64 v[17:18], v[17:18], v[21:22], v[19:20]
	v_cvt_f64_i32_e32 v[21:22], v5
	v_add_f64 v[19:20], v[27:28], v[17:18]
	s_delay_alu instid0(VALU_DEP_1) | instskip(SKIP_1) | instid1(VALU_DEP_4)
	v_add_f64 v[23:24], v[15:16], v[19:20]
	v_add_f64 v[25:26], v[19:20], -v[27:28]
	v_mul_f64 v[27:28], v[21:22], s[44:45]
	s_delay_alu instid0(VALU_DEP_3) | instskip(NEXT) | instid1(VALU_DEP_3)
	v_add_f64 v[15:16], v[23:24], -v[15:16]
	v_add_f64 v[17:18], v[17:18], -v[25:26]
	s_delay_alu instid0(VALU_DEP_3) | instskip(NEXT) | instid1(VALU_DEP_3)
	v_fma_f64 v[25:26], v[21:22], s[44:45], -v[27:28]
	v_add_f64 v[15:16], v[19:20], -v[15:16]
	s_delay_alu instid0(VALU_DEP_3) | instskip(NEXT) | instid1(VALU_DEP_3)
	v_add_f64 v[13:14], v[13:14], v[17:18]
	v_fma_f64 v[17:18], v[21:22], s[48:49], v[25:26]
	s_delay_alu instid0(VALU_DEP_2) | instskip(NEXT) | instid1(VALU_DEP_2)
	v_add_f64 v[13:14], v[13:14], v[15:16]
	v_add_f64 v[15:16], v[27:28], v[17:18]
	s_delay_alu instid0(VALU_DEP_2) | instskip(NEXT) | instid1(VALU_DEP_2)
	v_add_f64 v[19:20], v[23:24], v[13:14]
	v_add_f64 v[27:28], v[15:16], -v[27:28]
	s_delay_alu instid0(VALU_DEP_2) | instskip(SKIP_1) | instid1(VALU_DEP_3)
	v_add_f64 v[21:22], v[15:16], v[19:20]
	v_add_f64 v[23:24], v[19:20], -v[23:24]
	v_add_f64 v[17:18], v[17:18], -v[27:28]
	s_delay_alu instid0(VALU_DEP_3) | instskip(NEXT) | instid1(VALU_DEP_3)
	v_add_f64 v[25:26], v[21:22], -v[15:16]
	v_add_f64 v[13:14], v[13:14], -v[23:24]
	s_delay_alu instid0(VALU_DEP_2) | instskip(SKIP_1) | instid1(VALU_DEP_3)
	v_add_f64 v[29:30], v[21:22], -v[25:26]
	v_add_f64 v[19:20], v[19:20], -v[25:26]
	v_add_f64 v[23:24], v[17:18], v[13:14]
	s_delay_alu instid0(VALU_DEP_3) | instskip(NEXT) | instid1(VALU_DEP_1)
	v_add_f64 v[15:16], v[15:16], -v[29:30]
	v_add_f64 v[15:16], v[19:20], v[15:16]
	s_delay_alu instid0(VALU_DEP_3) | instskip(NEXT) | instid1(VALU_DEP_2)
	v_add_f64 v[19:20], v[23:24], -v[17:18]
	v_add_f64 v[15:16], v[23:24], v[15:16]
	s_delay_alu instid0(VALU_DEP_2) | instskip(SKIP_1) | instid1(VALU_DEP_3)
	v_add_f64 v[23:24], v[23:24], -v[19:20]
	v_add_f64 v[13:14], v[13:14], -v[19:20]
	v_add_f64 v[25:26], v[21:22], v[15:16]
	s_delay_alu instid0(VALU_DEP_3) | instskip(NEXT) | instid1(VALU_DEP_2)
	v_add_f64 v[17:18], v[17:18], -v[23:24]
	v_add_f64 v[19:20], v[25:26], -v[21:22]
	s_delay_alu instid0(VALU_DEP_2) | instskip(SKIP_2) | instid1(VALU_DEP_4)
	v_add_f64 v[13:14], v[13:14], v[17:18]
	v_cndmask_b32_e32 v18, 0x3fdc71c7, v10, vcc_lo
	v_cndmask_b32_e64 v17, 0x1c71c71d, 0, vcc_lo
	v_add_f64 v[15:16], v[15:16], -v[19:20]
	s_delay_alu instid0(VALU_DEP_1) | instskip(NEXT) | instid1(VALU_DEP_1)
	v_add_f64 v[13:14], v[13:14], v[15:16]
	v_add_f64 v[15:16], v[25:26], v[13:14]
	s_delay_alu instid0(VALU_DEP_1) | instskip(SKIP_1) | instid1(VALU_DEP_2)
	v_add_f64 v[19:20], v[15:16], -v[25:26]
	v_mul_f64 v[21:22], v[17:18], v[15:16]
	v_add_f64 v[13:14], v[13:14], -v[19:20]
	s_delay_alu instid0(VALU_DEP_2) | instskip(SKIP_1) | instid1(VALU_DEP_2)
	v_fma_f64 v[15:16], v[17:18], v[15:16], -v[21:22]
	v_cmp_class_f64_e64 vcc_lo, v[21:22], 0x204
	v_fma_f64 v[13:14], v[17:18], v[13:14], v[15:16]
	s_delay_alu instid0(VALU_DEP_1) | instskip(NEXT) | instid1(VALU_DEP_1)
	v_add_f64 v[15:16], v[21:22], v[13:14]
	v_dual_cndmask_b32 v20, v16, v22 :: v_dual_cndmask_b32 v19, v15, v21
	v_cmp_gt_f64_e32 vcc_lo, 0x10000000, v[8:9]
	v_add_f64 v[15:16], v[15:16], -v[21:22]
	s_delay_alu instid0(VALU_DEP_3)
	v_mul_f64 v[23:24], v[19:20], s[46:47]
	v_cmp_lt_f64_e64 s0, 0x40900000, v[19:20]
	v_cmp_neq_f64_e64 s1, 0x7ff00000, |v[19:20]|
	v_cmp_ngt_f64_e64 s3, 0xc090cc00, v[19:20]
	v_cndmask_b32_e64 v5, 0, 1, vcc_lo
	v_add_f64 v[13:14], v[13:14], -v[15:16]
	v_mul_f64 v[15:16], v[17:18], 0.5
	v_rndne_f64_e32 v[23:24], v[23:24]
	s_delay_alu instid0(VALU_DEP_4) | instskip(SKIP_1) | instid1(VALU_DEP_2)
	v_lshlrev_b32_e32 v5, 8, v5
	v_cmp_class_f64_e64 s4, v[11:12], 0x204
	v_ldexp_f64 v[8:9], v[8:9], v5
	v_cndmask_b32_e64 v14, 0, v14, s1
	v_cndmask_b32_e64 v13, 0, v13, s1
	v_fma_f64 v[25:26], v[23:24], s[50:51], v[19:20]
	v_cvt_i32_f64_e32 v5, v[23:24]
	v_rsq_f64_e32 v[29:30], v[8:9]
	s_delay_alu instid0(VALU_DEP_2) | instskip(SKIP_4) | instid1(VALU_DEP_2)
	v_fma_f64 v[25:26], v[23:24], s[52:53], v[25:26]
	s_waitcnt_depctr 0xfff
	v_mul_f64 v[33:34], v[8:9], v[29:30]
	v_mul_f64 v[29:30], v[29:30], 0.5
	v_fma_f64 v[27:28], v[25:26], s[56:57], s[54:55]
	v_fma_f64 v[35:36], -v[29:30], v[33:34], 0.5
	s_delay_alu instid0(VALU_DEP_2) | instskip(NEXT) | instid1(VALU_DEP_1)
	v_fma_f64 v[27:28], v[25:26], v[27:28], s[58:59]
	v_fma_f64 v[27:28], v[25:26], v[27:28], s[60:61]
	s_delay_alu instid0(VALU_DEP_1) | instskip(NEXT) | instid1(VALU_DEP_1)
	v_fma_f64 v[27:28], v[25:26], v[27:28], s[62:63]
	v_fma_f64 v[27:28], v[25:26], v[27:28], s[64:65]
	s_delay_alu instid0(VALU_DEP_1) | instskip(NEXT) | instid1(VALU_DEP_1)
	;; [unrolled: 3-line block ×4, first 2 shown]
	v_fma_f64 v[27:28], v[25:26], v[27:28], 1.0
	v_fma_f64 v[23:24], v[25:26], v[27:28], 1.0
	v_fma_f64 v[25:26], v[33:34], v[35:36], v[33:34]
	s_delay_alu instid0(VALU_DEP_2) | instskip(SKIP_1) | instid1(VALU_DEP_3)
	v_ldexp_f64 v[21:22], v[23:24], v5
	v_fma_f64 v[23:24], v[29:30], v[35:36], v[29:30]
	v_fma_f64 v[27:28], -v[25:26], v[25:26], v[8:9]
	s_delay_alu instid0(VALU_DEP_3) | instskip(SKIP_1) | instid1(VALU_DEP_3)
	v_cndmask_b32_e64 v29, v22, 0x7ff00000, s0
	v_and_b32_e32 v22, 0x7fffffff, v22
	v_fma_f64 v[19:20], v[27:28], v[23:24], v[25:26]
	v_cndmask_b32_e64 v5, v21, 0, s0
	v_trunc_f64_e32 v[27:28], v[17:18]
	v_cndmask_b32_e64 v26, 0, v29, s3
	v_cmp_eq_f64_e64 s1, 0x7ff00000, v[21:22]
	v_trunc_f64_e32 v[21:22], v[15:16]
	v_cndmask_b32_e64 v25, 0, v5, s3
	s_delay_alu instid0(VALU_DEP_1) | instskip(SKIP_2) | instid1(VALU_DEP_4)
	v_fma_f64 v[13:14], v[25:26], v[13:14], v[25:26]
	v_fma_f64 v[29:30], -v[19:20], v[19:20], v[8:9]
	s_or_b32 s1, s0, s1
	v_cmp_neq_f64_e64 s0, v[21:22], v[15:16]
	s_and_b32 s1, s3, s1
	v_cmp_eq_f64_e64 s3, v[27:28], v[17:18]
	s_delay_alu instid0(VALU_DEP_4)
	v_cndmask_b32_e64 v5, v13, v25, s1
	v_cndmask_b32_e64 v13, v14, v26, s1
	v_cmp_gt_f64_e64 s1, 0, v[11:12]
	v_fma_f64 v[15:16], v[29:30], v[23:24], v[19:20]
	s_and_b32 s0, s3, s0
	v_cndmask_b32_e64 v17, 0, v5, s3
	v_cndmask_b32_e64 v14, 0x3ff00000, v12, s0
	s_delay_alu instid0(VALU_DEP_2) | instskip(NEXT) | instid1(VALU_DEP_2)
	v_cndmask_b32_e64 v5, v5, v17, s1
	v_bfi_b32 v18, 0x7fffffff, v13, v14
	v_cndmask_b32_e64 v13, 0, 0xffffff80, vcc_lo
	v_cmp_eq_f64_e32 vcc_lo, 0, v[11:12]
	s_delay_alu instid0(VALU_DEP_3) | instskip(SKIP_1) | instid1(VALU_DEP_2)
	v_cndmask_b32_e64 v19, 0x7ff80000, v18, s3
	v_cmp_class_f64_e64 s3, v[8:9], 0x260
	v_cndmask_b32_e64 v18, v18, v19, s1
	v_ldexp_f64 v[13:14], v[15:16], v13
	v_cndmask_b32_e64 v16, 0, v12, s0
	v_cndmask_b32_e64 v15, 0x7ff00000, 0, vcc_lo
	s_or_b32 vcc_lo, vcc_lo, s4
	s_delay_alu instid0(VALU_DEP_1) | instskip(SKIP_1) | instid1(VALU_DEP_2)
	v_bfi_b32 v16, 0x7fffffff, v15, v16
	v_cndmask_b32_e64 v15, v5, 0, vcc_lo
	v_cndmask_b32_e32 v16, v18, v16, vcc_lo
	v_cmp_o_f64_e32 vcc_lo, v[11:12], v[11:12]
	v_cndmask_b32_e64 v9, v14, v9, s3
	v_cndmask_b32_e64 v8, v13, v8, s3
	s_delay_alu instid0(VALU_DEP_4) | instskip(SKIP_1) | instid1(VALU_DEP_2)
	v_add_f64 v[13:14], -v[15:16], 1.0
	s_waitcnt vmcnt(0)
	v_mul_f64 v[8:9], v[31:32], v[8:9]
	s_delay_alu instid0(VALU_DEP_2) | instskip(NEXT) | instid1(VALU_DEP_3)
	v_cndmask_b32_e32 v11, 0, v13, vcc_lo
	v_cndmask_b32_e32 v12, 0x7ff80000, v14, vcc_lo
	v_add_co_u32 v13, vcc_lo, s14, v0
	v_add_co_ci_u32_e32 v14, vcc_lo, s15, v1, vcc_lo
	s_delay_alu instid0(VALU_DEP_3) | instskip(SKIP_3) | instid1(VALU_DEP_3)
	v_mul_f64 v[8:9], v[8:9], v[11:12]
	s_waitcnt lgkmcnt(0)
	v_add_co_u32 v15, vcc_lo, s10, v0
	v_add_co_ci_u32_e32 v16, vcc_lo, s11, v1, vcc_lo
	v_mul_f64 v[11:12], v[11:12], v[8:9]
	v_mov_b32_e32 v8, 0
	v_mov_b32_e32 v9, 0
	global_store_b64 v[13:14], v[6:7], off
	global_store_b64 v[15:16], v[11:12], off
	s_and_saveexec_b32 s8, s2
	s_cbranch_execz .LBB0_5
; %bb.4:
	s_mov_b32 s0, 0x47ae147b
	s_mov_b32 s1, 0x3f947ae1
	;; [unrolled: 1-line block ×3, first 2 shown]
	v_mul_f64 v[2:3], |v[2:3]|, s[0:1]
	s_mov_b32 s11, 0xbff99999
	s_mov_b32 s17, 0xbfd66666
	s_delay_alu instid0(VALU_DEP_1) | instskip(SKIP_3) | instid1(VALU_DEP_4)
	v_frexp_mant_f64_e32 v[6:7], v[2:3]
	v_frexp_exp_i32_f64_e32 v9, v[2:3]
	v_cmp_eq_f64_e64 s6, 0, v[2:3]
	v_cmp_eq_f64_e64 s5, 0x7ff00000, v[2:3]
	v_cmp_gt_f64_e32 vcc_lo, s[18:19], v[6:7]
	v_cndmask_b32_e64 v5, 0x3ff00000, 2.0, vcc_lo
	v_subrev_co_ci_u32_e32 v9, vcc_lo, 0, v9, vcc_lo
	v_cmp_eq_f64_e32 vcc_lo, 1.0, v[2:3]
	s_delay_alu instid0(VALU_DEP_3) | instskip(NEXT) | instid1(VALU_DEP_1)
	v_mul_f64 v[5:6], v[6:7], v[4:5]
	v_add_f64 v[7:8], v[5:6], 1.0
	v_add_f64 v[15:16], v[5:6], -1.0
	s_delay_alu instid0(VALU_DEP_2) | instskip(SKIP_1) | instid1(VALU_DEP_1)
	v_rcp_f64_e32 v[11:12], v[7:8]
	v_add_f64 v[17:18], v[7:8], -1.0
	v_add_f64 v[5:6], v[5:6], -v[17:18]
	s_waitcnt_depctr 0xfff
	v_fma_f64 v[13:14], -v[7:8], v[11:12], 1.0
	s_delay_alu instid0(VALU_DEP_1) | instskip(NEXT) | instid1(VALU_DEP_1)
	v_fma_f64 v[11:12], v[13:14], v[11:12], v[11:12]
	v_fma_f64 v[13:14], -v[7:8], v[11:12], 1.0
	s_delay_alu instid0(VALU_DEP_1) | instskip(NEXT) | instid1(VALU_DEP_1)
	v_fma_f64 v[11:12], v[13:14], v[11:12], v[11:12]
	v_mul_f64 v[13:14], v[15:16], v[11:12]
	s_delay_alu instid0(VALU_DEP_1) | instskip(NEXT) | instid1(VALU_DEP_1)
	v_mul_f64 v[19:20], v[7:8], v[13:14]
	v_fma_f64 v[7:8], v[13:14], v[7:8], -v[19:20]
	s_delay_alu instid0(VALU_DEP_1) | instskip(NEXT) | instid1(VALU_DEP_1)
	v_fma_f64 v[5:6], v[13:14], v[5:6], v[7:8]
	v_add_f64 v[7:8], v[19:20], v[5:6]
	s_delay_alu instid0(VALU_DEP_1) | instskip(SKIP_1) | instid1(VALU_DEP_2)
	v_add_f64 v[17:18], v[15:16], -v[7:8]
	v_add_f64 v[19:20], v[7:8], -v[19:20]
	;; [unrolled: 1-line block ×3, first 2 shown]
	s_delay_alu instid0(VALU_DEP_2) | instskip(NEXT) | instid1(VALU_DEP_2)
	v_add_f64 v[5:6], v[19:20], -v[5:6]
	v_add_f64 v[7:8], v[15:16], -v[7:8]
	s_delay_alu instid0(VALU_DEP_1) | instskip(NEXT) | instid1(VALU_DEP_1)
	v_add_f64 v[5:6], v[5:6], v[7:8]
	v_add_f64 v[5:6], v[17:18], v[5:6]
	s_delay_alu instid0(VALU_DEP_1) | instskip(NEXT) | instid1(VALU_DEP_1)
	v_mul_f64 v[5:6], v[11:12], v[5:6]
	v_add_f64 v[7:8], v[13:14], v[5:6]
	s_delay_alu instid0(VALU_DEP_1) | instskip(SKIP_1) | instid1(VALU_DEP_2)
	v_add_f64 v[11:12], v[7:8], -v[13:14]
	v_mul_f64 v[13:14], v[7:8], v[7:8]
	v_add_f64 v[5:6], v[5:6], -v[11:12]
	s_delay_alu instid0(VALU_DEP_2) | instskip(NEXT) | instid1(VALU_DEP_2)
	v_fma_f64 v[11:12], v[7:8], v[7:8], -v[13:14]
	v_add_f64 v[15:16], v[5:6], v[5:6]
	s_delay_alu instid0(VALU_DEP_1) | instskip(NEXT) | instid1(VALU_DEP_1)
	v_fma_f64 v[11:12], v[7:8], v[15:16], v[11:12]
	v_add_f64 v[15:16], v[13:14], v[11:12]
	s_delay_alu instid0(VALU_DEP_1) | instskip(SKIP_2) | instid1(VALU_DEP_3)
	v_fma_f64 v[17:18], v[15:16], s[22:23], s[20:21]
	v_add_f64 v[13:14], v[15:16], -v[13:14]
	v_mul_f64 v[23:24], v[7:8], v[15:16]
	v_fma_f64 v[17:18], v[15:16], v[17:18], s[24:25]
	s_delay_alu instid0(VALU_DEP_3) | instskip(NEXT) | instid1(VALU_DEP_2)
	v_add_f64 v[11:12], v[11:12], -v[13:14]
	v_fma_f64 v[17:18], v[15:16], v[17:18], s[26:27]
	s_delay_alu instid0(VALU_DEP_1) | instskip(NEXT) | instid1(VALU_DEP_1)
	v_fma_f64 v[17:18], v[15:16], v[17:18], s[28:29]
	v_fma_f64 v[17:18], v[15:16], v[17:18], s[30:31]
	s_delay_alu instid0(VALU_DEP_1) | instskip(NEXT) | instid1(VALU_DEP_1)
	v_fma_f64 v[17:18], v[15:16], v[17:18], s[34:35]
	;; [unrolled: 3-line block ×3, first 2 shown]
	v_mul_f64 v[19:20], v[15:16], v[17:18]
	s_delay_alu instid0(VALU_DEP_1) | instskip(NEXT) | instid1(VALU_DEP_1)
	v_fma_f64 v[13:14], v[15:16], v[17:18], -v[19:20]
	v_fma_f64 v[13:14], v[11:12], v[17:18], v[13:14]
	s_delay_alu instid0(VALU_DEP_1) | instskip(NEXT) | instid1(VALU_DEP_1)
	v_add_f64 v[17:18], v[19:20], v[13:14]
	v_add_f64 v[21:22], v[17:18], s[18:19]
	v_add_f64 v[19:20], v[17:18], -v[19:20]
	s_delay_alu instid0(VALU_DEP_2) | instskip(NEXT) | instid1(VALU_DEP_2)
	v_add_f64 v[25:26], v[21:22], s[40:41]
	v_add_f64 v[13:14], v[13:14], -v[19:20]
	v_fma_f64 v[19:20], v[15:16], v[7:8], -v[23:24]
	s_delay_alu instid0(VALU_DEP_3) | instskip(NEXT) | instid1(VALU_DEP_3)
	v_add_f64 v[17:18], v[17:18], -v[25:26]
	v_add_f64 v[13:14], v[13:14], s[42:43]
	s_delay_alu instid0(VALU_DEP_3) | instskip(SKIP_1) | instid1(VALU_DEP_3)
	v_fma_f64 v[15:16], v[15:16], v[5:6], v[19:20]
	v_ldexp_f64 v[5:6], v[5:6], 1
	v_add_f64 v[13:14], v[13:14], v[17:18]
	s_delay_alu instid0(VALU_DEP_3) | instskip(SKIP_1) | instid1(VALU_DEP_3)
	v_fma_f64 v[11:12], v[11:12], v[7:8], v[15:16]
	v_ldexp_f64 v[7:8], v[7:8], 1
	v_add_f64 v[15:16], v[21:22], v[13:14]
	s_delay_alu instid0(VALU_DEP_3) | instskip(NEXT) | instid1(VALU_DEP_2)
	v_add_f64 v[17:18], v[23:24], v[11:12]
	v_add_f64 v[19:20], v[21:22], -v[15:16]
	s_delay_alu instid0(VALU_DEP_2) | instskip(SKIP_1) | instid1(VALU_DEP_3)
	v_mul_f64 v[21:22], v[17:18], v[15:16]
	v_add_f64 v[23:24], v[17:18], -v[23:24]
	v_add_f64 v[13:14], v[13:14], v[19:20]
	s_delay_alu instid0(VALU_DEP_3) | instskip(NEXT) | instid1(VALU_DEP_3)
	v_fma_f64 v[19:20], v[17:18], v[15:16], -v[21:22]
	v_add_f64 v[11:12], v[11:12], -v[23:24]
	s_delay_alu instid0(VALU_DEP_2) | instskip(NEXT) | instid1(VALU_DEP_1)
	v_fma_f64 v[13:14], v[17:18], v[13:14], v[19:20]
	v_fma_f64 v[11:12], v[11:12], v[15:16], v[13:14]
	v_cvt_f64_i32_e32 v[15:16], v9
	s_delay_alu instid0(VALU_DEP_2) | instskip(NEXT) | instid1(VALU_DEP_1)
	v_add_f64 v[13:14], v[21:22], v[11:12]
	v_add_f64 v[17:18], v[7:8], v[13:14]
	v_add_f64 v[19:20], v[13:14], -v[21:22]
	s_delay_alu instid0(VALU_DEP_4) | instskip(NEXT) | instid1(VALU_DEP_3)
	v_mul_f64 v[21:22], v[15:16], s[44:45]
	v_add_f64 v[7:8], v[17:18], -v[7:8]
	s_delay_alu instid0(VALU_DEP_3) | instskip(NEXT) | instid1(VALU_DEP_3)
	v_add_f64 v[11:12], v[11:12], -v[19:20]
	v_fma_f64 v[19:20], v[15:16], s[44:45], -v[21:22]
	s_delay_alu instid0(VALU_DEP_3) | instskip(NEXT) | instid1(VALU_DEP_3)
	v_add_f64 v[7:8], v[13:14], -v[7:8]
	v_add_f64 v[5:6], v[5:6], v[11:12]
	s_delay_alu instid0(VALU_DEP_3) | instskip(NEXT) | instid1(VALU_DEP_2)
	v_fma_f64 v[11:12], v[15:16], s[48:49], v[19:20]
	v_add_f64 v[5:6], v[5:6], v[7:8]
	s_delay_alu instid0(VALU_DEP_2) | instskip(NEXT) | instid1(VALU_DEP_2)
	v_add_f64 v[7:8], v[21:22], v[11:12]
	v_add_f64 v[13:14], v[17:18], v[5:6]
	s_delay_alu instid0(VALU_DEP_2) | instskip(NEXT) | instid1(VALU_DEP_2)
	v_add_f64 v[21:22], v[7:8], -v[21:22]
	v_add_f64 v[15:16], v[7:8], v[13:14]
	v_add_f64 v[17:18], v[13:14], -v[17:18]
	s_delay_alu instid0(VALU_DEP_3) | instskip(NEXT) | instid1(VALU_DEP_3)
	v_add_f64 v[11:12], v[11:12], -v[21:22]
	v_add_f64 v[19:20], v[15:16], -v[7:8]
	s_delay_alu instid0(VALU_DEP_3) | instskip(NEXT) | instid1(VALU_DEP_2)
	v_add_f64 v[5:6], v[5:6], -v[17:18]
	v_add_f64 v[23:24], v[15:16], -v[19:20]
	;; [unrolled: 1-line block ×3, first 2 shown]
	s_delay_alu instid0(VALU_DEP_3) | instskip(NEXT) | instid1(VALU_DEP_3)
	v_add_f64 v[17:18], v[11:12], v[5:6]
	v_add_f64 v[7:8], v[7:8], -v[23:24]
	s_delay_alu instid0(VALU_DEP_1) | instskip(NEXT) | instid1(VALU_DEP_3)
	v_add_f64 v[7:8], v[13:14], v[7:8]
	v_add_f64 v[13:14], v[17:18], -v[11:12]
	s_delay_alu instid0(VALU_DEP_2) | instskip(NEXT) | instid1(VALU_DEP_2)
	v_add_f64 v[7:8], v[17:18], v[7:8]
	v_add_f64 v[17:18], v[17:18], -v[13:14]
	v_add_f64 v[5:6], v[5:6], -v[13:14]
	s_delay_alu instid0(VALU_DEP_3) | instskip(NEXT) | instid1(VALU_DEP_3)
	v_add_f64 v[19:20], v[15:16], v[7:8]
	v_add_f64 v[11:12], v[11:12], -v[17:18]
	s_delay_alu instid0(VALU_DEP_2) | instskip(NEXT) | instid1(VALU_DEP_2)
	v_add_f64 v[13:14], v[19:20], -v[15:16]
	v_add_f64 v[5:6], v[5:6], v[11:12]
	v_cndmask_b32_e32 v12, 0x3fe99999, v10, vcc_lo
	v_cndmask_b32_e64 v11, 0x9999999a, 0, vcc_lo
	s_delay_alu instid0(VALU_DEP_4) | instskip(SKIP_2) | instid1(VALU_DEP_3)
	v_add_f64 v[7:8], v[7:8], -v[13:14]
	v_cndmask_b32_e32 v14, 0x3ffccccc, v10, vcc_lo
	v_cndmask_b32_e64 v13, 0xcccccccd, 0, vcc_lo
	v_add_f64 v[5:6], v[5:6], v[7:8]
	s_delay_alu instid0(VALU_DEP_1) | instskip(NEXT) | instid1(VALU_DEP_1)
	v_add_f64 v[7:8], v[19:20], v[5:6]
	v_add_f64 v[15:16], v[7:8], -v[19:20]
	v_mul_f64 v[17:18], v[11:12], v[7:8]
	v_mul_f64 v[19:20], v[13:14], v[7:8]
	s_delay_alu instid0(VALU_DEP_3) | instskip(NEXT) | instid1(VALU_DEP_3)
	v_add_f64 v[5:6], v[5:6], -v[15:16]
	v_fma_f64 v[15:16], v[11:12], v[7:8], -v[17:18]
	s_delay_alu instid0(VALU_DEP_3) | instskip(SKIP_2) | instid1(VALU_DEP_4)
	v_fma_f64 v[7:8], v[13:14], v[7:8], -v[19:20]
	v_cmp_class_f64_e64 vcc_lo, v[17:18], 0x204
	v_cmp_class_f64_e64 s0, v[19:20], 0x204
	v_fma_f64 v[11:12], v[11:12], v[5:6], v[15:16]
	s_delay_alu instid0(VALU_DEP_4) | instskip(NEXT) | instid1(VALU_DEP_2)
	v_fma_f64 v[5:6], v[13:14], v[5:6], v[7:8]
	v_add_f64 v[7:8], v[17:18], v[11:12]
	s_delay_alu instid0(VALU_DEP_2) | instskip(NEXT) | instid1(VALU_DEP_2)
	v_add_f64 v[13:14], v[19:20], v[5:6]
	v_dual_cndmask_b32 v16, v8, v18 :: v_dual_cndmask_b32 v15, v7, v17
	s_delay_alu instid0(VALU_DEP_2) | instskip(NEXT) | instid1(VALU_DEP_3)
	v_cndmask_b32_e64 v22, v14, v20, s0
	v_cndmask_b32_e64 v21, v13, v19, s0
	v_add_f64 v[7:8], v[7:8], -v[17:18]
	v_add_f64 v[13:14], v[13:14], -v[19:20]
	v_mul_f64 v[23:24], v[15:16], s[46:47]
	v_cmp_lt_f64_e32 vcc_lo, 0x40900000, v[15:16]
	v_mul_f64 v[25:26], v[21:22], s[46:47]
	v_cmp_lt_f64_e64 s0, 0x40900000, v[21:22]
	v_cmp_neq_f64_e64 s1, 0x7ff00000, |v[15:16]|
	v_cmp_neq_f64_e64 s2, 0x7ff00000, |v[21:22]|
	v_cmp_ngt_f64_e64 s3, 0xc090cc00, v[15:16]
	v_cmp_ngt_f64_e64 s4, 0xc090cc00, v[21:22]
	v_add_f64 v[7:8], v[11:12], -v[7:8]
	v_add_f64 v[5:6], v[5:6], -v[13:14]
	v_rndne_f64_e32 v[23:24], v[23:24]
	v_rndne_f64_e32 v[25:26], v[25:26]
	s_delay_alu instid0(VALU_DEP_4) | instskip(SKIP_1) | instid1(VALU_DEP_4)
	v_cndmask_b32_e64 v8, 0, v8, s1
	v_cndmask_b32_e64 v7, 0, v7, s1
	v_fma_f64 v[27:28], v[23:24], s[50:51], v[15:16]
	v_cvt_i32_f64_e32 v9, v[23:24]
	v_fma_f64 v[29:30], v[25:26], s[50:51], v[21:22]
	v_cndmask_b32_e64 v6, 0, v6, s2
	v_cndmask_b32_e64 v5, 0, v5, s2
	v_fma_f64 v[27:28], v[23:24], s[52:53], v[27:28]
	s_delay_alu instid0(VALU_DEP_4) | instskip(NEXT) | instid1(VALU_DEP_2)
	v_fma_f64 v[29:30], v[25:26], s[52:53], v[29:30]
	v_fma_f64 v[31:32], v[27:28], s[56:57], s[54:55]
	s_delay_alu instid0(VALU_DEP_2) | instskip(NEXT) | instid1(VALU_DEP_2)
	v_fma_f64 v[33:34], v[29:30], s[56:57], s[54:55]
	v_fma_f64 v[31:32], v[27:28], v[31:32], s[58:59]
	s_delay_alu instid0(VALU_DEP_2) | instskip(NEXT) | instid1(VALU_DEP_2)
	;; [unrolled: 3-line block ×9, first 2 shown]
	v_fma_f64 v[33:34], v[29:30], v[33:34], s[72:73]
	v_fma_f64 v[31:32], v[27:28], v[31:32], 1.0
	s_delay_alu instid0(VALU_DEP_2) | instskip(NEXT) | instid1(VALU_DEP_2)
	v_fma_f64 v[33:34], v[29:30], v[33:34], 1.0
	v_fma_f64 v[23:24], v[27:28], v[31:32], 1.0
	v_cvt_i32_f64_e32 v27, v[25:26]
	s_delay_alu instid0(VALU_DEP_3) | instskip(NEXT) | instid1(VALU_DEP_3)
	v_fma_f64 v[25:26], v[29:30], v[33:34], 1.0
	v_ldexp_f64 v[17:18], v[23:24], v9
	s_delay_alu instid0(VALU_DEP_2) | instskip(NEXT) | instid1(VALU_DEP_2)
	v_ldexp_f64 v[19:20], v[25:26], v27
	v_cndmask_b32_e64 v9, v17, 0, vcc_lo
	s_delay_alu instid0(VALU_DEP_3) | instskip(NEXT) | instid1(VALU_DEP_3)
	v_cndmask_b32_e64 v11, v18, 0x7ff00000, vcc_lo
	v_cndmask_b32_e64 v13, v19, 0, s0
	s_delay_alu instid0(VALU_DEP_4)
	v_cndmask_b32_e64 v14, v20, 0x7ff00000, s0
	v_and_b32_e32 v18, 0x7fffffff, v18
	v_and_b32_e32 v20, 0x7fffffff, v20
	v_cndmask_b32_e64 v12, 0, v11, s3
	v_cndmask_b32_e64 v11, 0, v9, s3
	;; [unrolled: 1-line block ×4, first 2 shown]
	v_cmp_eq_f64_e64 s1, 0x7ff00000, v[17:18]
	v_cmp_eq_f64_e64 s2, 0x7ff00000, v[19:20]
	v_fma_f64 v[7:8], v[11:12], v[7:8], v[11:12]
	s_delay_alu instid0(VALU_DEP_4) | instskip(NEXT) | instid1(VALU_DEP_4)
	v_fma_f64 v[5:6], v[13:14], v[5:6], v[13:14]
	s_or_b32 s1, vcc_lo, s1
	s_delay_alu instid0(VALU_DEP_3) | instskip(SKIP_2) | instid1(VALU_DEP_2)
	s_or_b32 s0, s0, s2
	s_and_b32 vcc_lo, s3, s1
	s_and_b32 s0, s4, s0
	v_cndmask_b32_e32 v2, v8, v12, vcc_lo
	s_delay_alu instid0(VALU_DEP_2) | instskip(SKIP_1) | instid1(VALU_DEP_4)
	v_cndmask_b32_e64 v3, v6, v14, s0
	v_cndmask_b32_e64 v6, 0x7ff00000, 0, s6
	;; [unrolled: 1-line block ×3, first 2 shown]
	s_or_b32 s0, s5, s6
	v_and_b32_e32 v2, 0x7fffffff, v2
	v_and_b32_e32 v8, 0x7fffffff, v3
	s_delay_alu instid0(VALU_DEP_3) | instskip(NEXT) | instid1(VALU_DEP_3)
	v_cndmask_b32_e64 v5, v5, 0, s0
	v_cndmask_b32_e64 v3, v2, v6, s0
	s_delay_alu instid0(VALU_DEP_3) | instskip(NEXT) | instid1(VALU_DEP_1)
	v_cndmask_b32_e64 v6, v8, v6, s0
	v_add_f64 v[8:9], v[5:6], 1.0
	s_delay_alu instid0(VALU_DEP_1) | instskip(SKIP_3) | instid1(VALU_DEP_4)
	v_frexp_mant_f64_e64 v[12:13], |v[8:9]|
	v_frexp_exp_i32_f64_e32 v2, v[8:9]
	v_cmp_eq_f64_e64 s4, 0, v[8:9]
	v_cmp_class_f64_e64 s9, v[8:9], 0x204
	v_cmp_gt_f64_e64 s1, s[18:19], v[12:13]
	s_delay_alu instid0(VALU_DEP_1) | instskip(SKIP_2) | instid1(VALU_DEP_3)
	v_cndmask_b32_e64 v5, 0x3ff00000, 2.0, s1
	v_subrev_co_ci_u32_e64 v2, s1, 0, v2, s1
	v_cmp_eq_f64_e64 s1, 1.0, v[8:9]
	v_mul_f64 v[4:5], v[12:13], v[4:5]
	s_delay_alu instid0(VALU_DEP_1) | instskip(SKIP_1) | instid1(VALU_DEP_2)
	v_add_f64 v[12:13], v[4:5], 1.0
	v_add_f64 v[18:19], v[4:5], -1.0
	v_rcp_f64_e32 v[14:15], v[12:13]
	v_add_f64 v[20:21], v[12:13], -1.0
	s_delay_alu instid0(VALU_DEP_1) | instskip(SKIP_2) | instid1(VALU_DEP_1)
	v_add_f64 v[4:5], v[4:5], -v[20:21]
	s_waitcnt_depctr 0xfff
	v_fma_f64 v[16:17], -v[12:13], v[14:15], 1.0
	v_fma_f64 v[14:15], v[16:17], v[14:15], v[14:15]
	s_delay_alu instid0(VALU_DEP_1) | instskip(NEXT) | instid1(VALU_DEP_1)
	v_fma_f64 v[16:17], -v[12:13], v[14:15], 1.0
	v_fma_f64 v[14:15], v[16:17], v[14:15], v[14:15]
	s_delay_alu instid0(VALU_DEP_1) | instskip(NEXT) | instid1(VALU_DEP_1)
	v_mul_f64 v[16:17], v[18:19], v[14:15]
	v_mul_f64 v[22:23], v[12:13], v[16:17]
	s_delay_alu instid0(VALU_DEP_1) | instskip(NEXT) | instid1(VALU_DEP_1)
	v_fma_f64 v[12:13], v[16:17], v[12:13], -v[22:23]
	v_fma_f64 v[4:5], v[16:17], v[4:5], v[12:13]
	s_delay_alu instid0(VALU_DEP_1) | instskip(NEXT) | instid1(VALU_DEP_1)
	v_add_f64 v[12:13], v[22:23], v[4:5]
	v_add_f64 v[20:21], v[18:19], -v[12:13]
	v_add_f64 v[22:23], v[12:13], -v[22:23]
	s_delay_alu instid0(VALU_DEP_2) | instskip(NEXT) | instid1(VALU_DEP_2)
	v_add_f64 v[18:19], v[18:19], -v[20:21]
	v_add_f64 v[4:5], v[22:23], -v[4:5]
	s_delay_alu instid0(VALU_DEP_2) | instskip(NEXT) | instid1(VALU_DEP_1)
	v_add_f64 v[12:13], v[18:19], -v[12:13]
	v_add_f64 v[4:5], v[4:5], v[12:13]
	s_delay_alu instid0(VALU_DEP_1) | instskip(NEXT) | instid1(VALU_DEP_1)
	v_add_f64 v[4:5], v[20:21], v[4:5]
	v_mul_f64 v[4:5], v[14:15], v[4:5]
	s_delay_alu instid0(VALU_DEP_1) | instskip(NEXT) | instid1(VALU_DEP_1)
	v_add_f64 v[12:13], v[16:17], v[4:5]
	v_add_f64 v[14:15], v[12:13], -v[16:17]
	v_mul_f64 v[16:17], v[12:13], v[12:13]
	s_delay_alu instid0(VALU_DEP_2) | instskip(NEXT) | instid1(VALU_DEP_2)
	v_add_f64 v[4:5], v[4:5], -v[14:15]
	v_fma_f64 v[14:15], v[12:13], v[12:13], -v[16:17]
	s_delay_alu instid0(VALU_DEP_2) | instskip(NEXT) | instid1(VALU_DEP_1)
	v_add_f64 v[18:19], v[4:5], v[4:5]
	v_fma_f64 v[14:15], v[12:13], v[18:19], v[14:15]
	s_delay_alu instid0(VALU_DEP_1) | instskip(NEXT) | instid1(VALU_DEP_1)
	v_add_f64 v[18:19], v[16:17], v[14:15]
	v_fma_f64 v[20:21], v[18:19], s[22:23], s[20:21]
	v_add_f64 v[16:17], v[18:19], -v[16:17]
	v_mul_f64 v[26:27], v[12:13], v[18:19]
	s_delay_alu instid0(VALU_DEP_3) | instskip(NEXT) | instid1(VALU_DEP_3)
	v_fma_f64 v[20:21], v[18:19], v[20:21], s[24:25]
	v_add_f64 v[14:15], v[14:15], -v[16:17]
	s_delay_alu instid0(VALU_DEP_2) | instskip(NEXT) | instid1(VALU_DEP_1)
	v_fma_f64 v[20:21], v[18:19], v[20:21], s[26:27]
	v_fma_f64 v[20:21], v[18:19], v[20:21], s[28:29]
	s_delay_alu instid0(VALU_DEP_1) | instskip(NEXT) | instid1(VALU_DEP_1)
	v_fma_f64 v[20:21], v[18:19], v[20:21], s[30:31]
	v_fma_f64 v[20:21], v[18:19], v[20:21], s[34:35]
	s_delay_alu instid0(VALU_DEP_1) | instskip(NEXT) | instid1(VALU_DEP_1)
	;; [unrolled: 3-line block ×3, first 2 shown]
	v_mul_f64 v[22:23], v[18:19], v[20:21]
	v_fma_f64 v[16:17], v[18:19], v[20:21], -v[22:23]
	s_delay_alu instid0(VALU_DEP_1) | instskip(NEXT) | instid1(VALU_DEP_1)
	v_fma_f64 v[16:17], v[14:15], v[20:21], v[16:17]
	v_add_f64 v[20:21], v[22:23], v[16:17]
	s_delay_alu instid0(VALU_DEP_1) | instskip(SKIP_1) | instid1(VALU_DEP_2)
	v_add_f64 v[24:25], v[20:21], s[18:19]
	v_add_f64 v[22:23], v[20:21], -v[22:23]
	v_add_f64 v[28:29], v[24:25], s[40:41]
	s_delay_alu instid0(VALU_DEP_2) | instskip(SKIP_1) | instid1(VALU_DEP_3)
	v_add_f64 v[16:17], v[16:17], -v[22:23]
	v_fma_f64 v[22:23], v[18:19], v[12:13], -v[26:27]
	v_add_f64 v[20:21], v[20:21], -v[28:29]
	s_delay_alu instid0(VALU_DEP_3) | instskip(NEXT) | instid1(VALU_DEP_3)
	v_add_f64 v[16:17], v[16:17], s[42:43]
	v_fma_f64 v[18:19], v[18:19], v[4:5], v[22:23]
	v_ldexp_f64 v[4:5], v[4:5], 1
	s_delay_alu instid0(VALU_DEP_3) | instskip(NEXT) | instid1(VALU_DEP_3)
	v_add_f64 v[16:17], v[16:17], v[20:21]
	v_fma_f64 v[14:15], v[14:15], v[12:13], v[18:19]
	v_ldexp_f64 v[12:13], v[12:13], 1
	s_delay_alu instid0(VALU_DEP_3) | instskip(NEXT) | instid1(VALU_DEP_3)
	v_add_f64 v[18:19], v[24:25], v[16:17]
	v_add_f64 v[20:21], v[26:27], v[14:15]
	s_delay_alu instid0(VALU_DEP_2) | instskip(NEXT) | instid1(VALU_DEP_2)
	v_add_f64 v[22:23], v[24:25], -v[18:19]
	v_mul_f64 v[24:25], v[20:21], v[18:19]
	v_add_f64 v[26:27], v[20:21], -v[26:27]
	s_delay_alu instid0(VALU_DEP_3) | instskip(NEXT) | instid1(VALU_DEP_3)
	v_add_f64 v[16:17], v[16:17], v[22:23]
	v_fma_f64 v[22:23], v[20:21], v[18:19], -v[24:25]
	s_delay_alu instid0(VALU_DEP_3) | instskip(NEXT) | instid1(VALU_DEP_2)
	v_add_f64 v[14:15], v[14:15], -v[26:27]
	v_fma_f64 v[16:17], v[20:21], v[16:17], v[22:23]
	s_delay_alu instid0(VALU_DEP_1) | instskip(SKIP_1) | instid1(VALU_DEP_2)
	v_fma_f64 v[14:15], v[14:15], v[18:19], v[16:17]
	v_cvt_f64_i32_e32 v[18:19], v2
	v_add_f64 v[16:17], v[24:25], v[14:15]
	s_delay_alu instid0(VALU_DEP_1) | instskip(SKIP_1) | instid1(VALU_DEP_4)
	v_add_f64 v[20:21], v[12:13], v[16:17]
	v_add_f64 v[22:23], v[16:17], -v[24:25]
	v_mul_f64 v[24:25], v[18:19], s[44:45]
	s_delay_alu instid0(VALU_DEP_3) | instskip(NEXT) | instid1(VALU_DEP_3)
	v_add_f64 v[12:13], v[20:21], -v[12:13]
	v_add_f64 v[14:15], v[14:15], -v[22:23]
	s_delay_alu instid0(VALU_DEP_3) | instskip(NEXT) | instid1(VALU_DEP_3)
	v_fma_f64 v[22:23], v[18:19], s[44:45], -v[24:25]
	v_add_f64 v[12:13], v[16:17], -v[12:13]
	s_delay_alu instid0(VALU_DEP_3) | instskip(NEXT) | instid1(VALU_DEP_3)
	v_add_f64 v[4:5], v[4:5], v[14:15]
	v_fma_f64 v[14:15], v[18:19], s[48:49], v[22:23]
	s_delay_alu instid0(VALU_DEP_2) | instskip(NEXT) | instid1(VALU_DEP_2)
	v_add_f64 v[4:5], v[4:5], v[12:13]
	v_add_f64 v[12:13], v[24:25], v[14:15]
	s_delay_alu instid0(VALU_DEP_2) | instskip(NEXT) | instid1(VALU_DEP_2)
	v_add_f64 v[16:17], v[20:21], v[4:5]
	v_add_f64 v[24:25], v[12:13], -v[24:25]
	s_delay_alu instid0(VALU_DEP_2) | instskip(SKIP_1) | instid1(VALU_DEP_3)
	v_add_f64 v[18:19], v[12:13], v[16:17]
	v_add_f64 v[20:21], v[16:17], -v[20:21]
	v_add_f64 v[14:15], v[14:15], -v[24:25]
	s_delay_alu instid0(VALU_DEP_3) | instskip(NEXT) | instid1(VALU_DEP_3)
	v_add_f64 v[22:23], v[18:19], -v[12:13]
	v_add_f64 v[4:5], v[4:5], -v[20:21]
	s_delay_alu instid0(VALU_DEP_2) | instskip(SKIP_1) | instid1(VALU_DEP_3)
	v_add_f64 v[26:27], v[18:19], -v[22:23]
	v_add_f64 v[16:17], v[16:17], -v[22:23]
	v_add_f64 v[20:21], v[14:15], v[4:5]
	s_delay_alu instid0(VALU_DEP_3) | instskip(NEXT) | instid1(VALU_DEP_1)
	v_add_f64 v[12:13], v[12:13], -v[26:27]
	v_add_f64 v[12:13], v[16:17], v[12:13]
	s_delay_alu instid0(VALU_DEP_3) | instskip(NEXT) | instid1(VALU_DEP_2)
	v_add_f64 v[16:17], v[20:21], -v[14:15]
	v_add_f64 v[12:13], v[20:21], v[12:13]
	s_delay_alu instid0(VALU_DEP_2) | instskip(SKIP_1) | instid1(VALU_DEP_3)
	v_add_f64 v[20:21], v[20:21], -v[16:17]
	v_add_f64 v[4:5], v[4:5], -v[16:17]
	v_add_f64 v[22:23], v[18:19], v[12:13]
	s_delay_alu instid0(VALU_DEP_3) | instskip(NEXT) | instid1(VALU_DEP_2)
	v_add_f64 v[14:15], v[14:15], -v[20:21]
	v_add_f64 v[16:17], v[22:23], -v[18:19]
	s_delay_alu instid0(VALU_DEP_2) | instskip(SKIP_2) | instid1(VALU_DEP_1)
	v_add_f64 v[4:5], v[4:5], v[14:15]
	v_cndmask_b32_e64 v15, 0xbff71c71, v10, s1
	v_cndmask_b32_e64 v14, 0xc71c71c7, 0, s1
	v_cmp_gt_f64_e64 s5, 0, v[14:15]
	v_add_f64 v[12:13], v[12:13], -v[16:17]
	s_delay_alu instid0(VALU_DEP_1) | instskip(NEXT) | instid1(VALU_DEP_1)
	v_add_f64 v[4:5], v[4:5], v[12:13]
	v_add_f64 v[12:13], v[22:23], v[4:5]
	s_delay_alu instid0(VALU_DEP_1) | instskip(SKIP_1) | instid1(VALU_DEP_2)
	v_add_f64 v[16:17], v[12:13], -v[22:23]
	v_mul_f64 v[18:19], v[14:15], v[12:13]
	v_add_f64 v[4:5], v[4:5], -v[16:17]
	s_delay_alu instid0(VALU_DEP_2) | instskip(SKIP_1) | instid1(VALU_DEP_2)
	v_fma_f64 v[12:13], v[14:15], v[12:13], -v[18:19]
	v_cmp_class_f64_e64 s1, v[18:19], 0x204
	v_fma_f64 v[4:5], v[14:15], v[4:5], v[12:13]
	s_delay_alu instid0(VALU_DEP_1) | instskip(NEXT) | instid1(VALU_DEP_1)
	v_add_f64 v[12:13], v[18:19], v[4:5]
	v_cndmask_b32_e64 v17, v13, v19, s1
	s_delay_alu instid0(VALU_DEP_2) | instskip(SKIP_1) | instid1(VALU_DEP_2)
	v_cndmask_b32_e64 v16, v12, v18, s1
	v_add_f64 v[12:13], v[12:13], -v[18:19]
	v_mul_f64 v[20:21], v[16:17], s[46:47]
	v_cmp_lt_f64_e64 s1, 0x40900000, v[16:17]
	v_cmp_neq_f64_e64 s2, 0x7ff00000, |v[16:17]|
	v_cmp_ngt_f64_e64 s3, 0xc090cc00, v[16:17]
	v_add_f64 v[4:5], v[4:5], -v[12:13]
	v_rndne_f64_e32 v[20:21], v[20:21]
	s_delay_alu instid0(VALU_DEP_2) | instskip(NEXT) | instid1(VALU_DEP_3)
	v_cndmask_b32_e64 v5, 0, v5, s2
	v_cndmask_b32_e64 v4, 0, v4, s2
	s_delay_alu instid0(VALU_DEP_3) | instskip(SKIP_1) | instid1(VALU_DEP_2)
	v_fma_f64 v[22:23], v[20:21], s[50:51], v[16:17]
	v_cvt_i32_f64_e32 v2, v[20:21]
	v_fma_f64 v[22:23], v[20:21], s[52:53], v[22:23]
	s_delay_alu instid0(VALU_DEP_1) | instskip(NEXT) | instid1(VALU_DEP_1)
	v_fma_f64 v[24:25], v[22:23], s[56:57], s[54:55]
	v_fma_f64 v[24:25], v[22:23], v[24:25], s[58:59]
	s_delay_alu instid0(VALU_DEP_1) | instskip(NEXT) | instid1(VALU_DEP_1)
	v_fma_f64 v[24:25], v[22:23], v[24:25], s[60:61]
	;; [unrolled: 3-line block ×5, first 2 shown]
	v_fma_f64 v[24:25], v[22:23], v[24:25], 1.0
	s_delay_alu instid0(VALU_DEP_1) | instskip(SKIP_1) | instid1(VALU_DEP_2)
	v_fma_f64 v[20:21], v[22:23], v[24:25], 1.0
	v_mul_f64 v[22:23], v[14:15], 0.5
	v_ldexp_f64 v[18:19], v[20:21], v2
	v_trunc_f64_e32 v[20:21], v[14:15]
	s_delay_alu instid0(VALU_DEP_3) | instskip(NEXT) | instid1(VALU_DEP_3)
	v_trunc_f64_e32 v[24:25], v[22:23]
	v_cndmask_b32_e64 v2, v18, 0, s1
	s_delay_alu instid0(VALU_DEP_4)
	v_cndmask_b32_e64 v6, v19, 0x7ff00000, s1
	v_and_b32_e32 v19, 0x7fffffff, v19
	v_cmp_eq_f64_e64 s6, v[20:21], v[14:15]
	v_cmp_neq_f64_e64 s7, v[24:25], v[22:23]
	v_cndmask_b32_e64 v12, 0, v2, s3
	v_cndmask_b32_e64 v13, 0, v6, s3
	v_cmp_eq_f64_e64 s2, 0x7ff00000, v[18:19]
	v_cndmask_b32_e32 v2, v7, v11, vcc_lo
	s_delay_alu instid0(VALU_DEP_3) | instskip(NEXT) | instid1(VALU_DEP_2)
	v_fma_f64 v[4:5], v[12:13], v[4:5], v[12:13]
	v_cndmask_b32_e64 v2, v2, 0, s0
	s_xor_b32 s0, s4, s5
	s_delay_alu instid0(SALU_CYCLE_1) | instskip(NEXT) | instid1(VALU_DEP_2)
	v_cndmask_b32_e64 v6, 0x7ff00000, 0, s0
	v_mul_f64 v[2:3], v[2:3], s[10:11]
	s_and_b32 vcc_lo, s6, s7
	v_cndmask_b32_e32 v7, 0x3ff00000, v9, vcc_lo
	s_or_b32 s0, s1, s2
	v_cndmask_b32_e32 v10, 0, v9, vcc_lo
	s_and_b32 vcc_lo, s3, s0
	v_dual_cndmask_b32 v5, v5, v13 :: v_dual_cndmask_b32 v4, v4, v12
	s_delay_alu instid0(VALU_DEP_2) | instskip(SKIP_1) | instid1(VALU_DEP_2)
	v_bfi_b32 v6, 0x7fffffff, v6, v10
	s_or_b32 vcc_lo, s4, s9
	v_bfi_b32 v5, 0x7fffffff, v5, v7
	s_delay_alu instid0(VALU_DEP_3) | instskip(SKIP_1) | instid1(VALU_DEP_3)
	v_cndmask_b32_e64 v4, v4, 0, vcc_lo
	v_mul_f64 v[2:3], v[2:3], s[16:17]
	v_cndmask_b32_e32 v5, v5, v6, vcc_lo
	v_cmp_o_f64_e32 vcc_lo, v[8:9], v[8:9]
	s_delay_alu instid0(VALU_DEP_4) | instskip(NEXT) | instid1(VALU_DEP_3)
	v_cndmask_b32_e32 v4, 0, v4, vcc_lo
	v_cndmask_b32_e32 v5, 0x7ff80000, v5, vcc_lo
	s_delay_alu instid0(VALU_DEP_1)
	v_mul_f64 v[8:9], v[2:3], v[4:5]
.LBB0_5:
	s_or_b32 exec_lo, exec_lo, s8
	v_add_co_u32 v0, vcc_lo, s12, v0
	v_add_co_ci_u32_e32 v1, vcc_lo, s13, v1, vcc_lo
	global_store_b64 v[0:1], v[8:9], off
.LBB0_6:
	s_nop 0
	s_sendmsg sendmsg(MSG_DEALLOC_VGPRS)
	s_endpgm
	.section	.rodata,"a",@progbits
	.p2align	6, 0x0
	.amdhsa_kernel _Z12vanGenuchtenPKdS0_PdS1_S1_i
		.amdhsa_group_segment_fixed_size 0
		.amdhsa_private_segment_fixed_size 0
		.amdhsa_kernarg_size 304
		.amdhsa_user_sgpr_count 15
		.amdhsa_user_sgpr_dispatch_ptr 0
		.amdhsa_user_sgpr_queue_ptr 0
		.amdhsa_user_sgpr_kernarg_segment_ptr 1
		.amdhsa_user_sgpr_dispatch_id 0
		.amdhsa_user_sgpr_private_segment_size 0
		.amdhsa_wavefront_size32 1
		.amdhsa_uses_dynamic_stack 0
		.amdhsa_enable_private_segment 0
		.amdhsa_system_sgpr_workgroup_id_x 1
		.amdhsa_system_sgpr_workgroup_id_y 0
		.amdhsa_system_sgpr_workgroup_id_z 0
		.amdhsa_system_sgpr_workgroup_info 0
		.amdhsa_system_vgpr_workitem_id 0
		.amdhsa_next_free_vgpr 37
		.amdhsa_next_free_sgpr 74
		.amdhsa_reserve_vcc 1
		.amdhsa_float_round_mode_32 0
		.amdhsa_float_round_mode_16_64 0
		.amdhsa_float_denorm_mode_32 3
		.amdhsa_float_denorm_mode_16_64 3
		.amdhsa_dx10_clamp 1
		.amdhsa_ieee_mode 1
		.amdhsa_fp16_overflow 0
		.amdhsa_workgroup_processor_mode 1
		.amdhsa_memory_ordered 1
		.amdhsa_forward_progress 0
		.amdhsa_shared_vgpr_count 0
		.amdhsa_exception_fp_ieee_invalid_op 0
		.amdhsa_exception_fp_denorm_src 0
		.amdhsa_exception_fp_ieee_div_zero 0
		.amdhsa_exception_fp_ieee_overflow 0
		.amdhsa_exception_fp_ieee_underflow 0
		.amdhsa_exception_fp_ieee_inexact 0
		.amdhsa_exception_int_div_zero 0
	.end_amdhsa_kernel
	.text
.Lfunc_end0:
	.size	_Z12vanGenuchtenPKdS0_PdS1_S1_i, .Lfunc_end0-_Z12vanGenuchtenPKdS0_PdS1_S1_i
                                        ; -- End function
	.section	.AMDGPU.csdata,"",@progbits
; Kernel info:
; codeLenInByte = 11924
; NumSgprs: 76
; NumVgprs: 37
; ScratchSize: 0
; MemoryBound: 0
; FloatMode: 240
; IeeeMode: 1
; LDSByteSize: 0 bytes/workgroup (compile time only)
; SGPRBlocks: 9
; VGPRBlocks: 4
; NumSGPRsForWavesPerEU: 76
; NumVGPRsForWavesPerEU: 37
; Occupancy: 16
; WaveLimiterHint : 0
; COMPUTE_PGM_RSRC2:SCRATCH_EN: 0
; COMPUTE_PGM_RSRC2:USER_SGPR: 15
; COMPUTE_PGM_RSRC2:TRAP_HANDLER: 0
; COMPUTE_PGM_RSRC2:TGID_X_EN: 1
; COMPUTE_PGM_RSRC2:TGID_Y_EN: 0
; COMPUTE_PGM_RSRC2:TGID_Z_EN: 0
; COMPUTE_PGM_RSRC2:TIDIG_COMP_CNT: 0
	.text
	.p2alignl 7, 3214868480
	.fill 96, 4, 3214868480
	.type	__hip_cuid_9046482044912f45,@object ; @__hip_cuid_9046482044912f45
	.section	.bss,"aw",@nobits
	.globl	__hip_cuid_9046482044912f45
__hip_cuid_9046482044912f45:
	.byte	0                               ; 0x0
	.size	__hip_cuid_9046482044912f45, 1

	.ident	"AMD clang version 19.0.0git (https://github.com/RadeonOpenCompute/llvm-project roc-6.4.0 25133 c7fe45cf4b819c5991fe208aaa96edf142730f1d)"
	.section	".note.GNU-stack","",@progbits
	.addrsig
	.addrsig_sym __hip_cuid_9046482044912f45
	.amdgpu_metadata
---
amdhsa.kernels:
  - .args:
      - .actual_access:  read_only
        .address_space:  global
        .offset:         0
        .size:           8
        .value_kind:     global_buffer
      - .actual_access:  read_only
        .address_space:  global
        .offset:         8
        .size:           8
        .value_kind:     global_buffer
      - .actual_access:  write_only
        .address_space:  global
        .offset:         16
        .size:           8
        .value_kind:     global_buffer
      - .actual_access:  write_only
        .address_space:  global
        .offset:         24
        .size:           8
        .value_kind:     global_buffer
      - .actual_access:  write_only
        .address_space:  global
        .offset:         32
        .size:           8
        .value_kind:     global_buffer
      - .offset:         40
        .size:           4
        .value_kind:     by_value
      - .offset:         48
        .size:           4
        .value_kind:     hidden_block_count_x
      - .offset:         52
        .size:           4
        .value_kind:     hidden_block_count_y
      - .offset:         56
        .size:           4
        .value_kind:     hidden_block_count_z
      - .offset:         60
        .size:           2
        .value_kind:     hidden_group_size_x
      - .offset:         62
        .size:           2
        .value_kind:     hidden_group_size_y
      - .offset:         64
        .size:           2
        .value_kind:     hidden_group_size_z
      - .offset:         66
        .size:           2
        .value_kind:     hidden_remainder_x
      - .offset:         68
        .size:           2
        .value_kind:     hidden_remainder_y
      - .offset:         70
        .size:           2
        .value_kind:     hidden_remainder_z
      - .offset:         88
        .size:           8
        .value_kind:     hidden_global_offset_x
      - .offset:         96
        .size:           8
        .value_kind:     hidden_global_offset_y
      - .offset:         104
        .size:           8
        .value_kind:     hidden_global_offset_z
      - .offset:         112
        .size:           2
        .value_kind:     hidden_grid_dims
    .group_segment_fixed_size: 0
    .kernarg_segment_align: 8
    .kernarg_segment_size: 304
    .language:       OpenCL C
    .language_version:
      - 2
      - 0
    .max_flat_workgroup_size: 1024
    .name:           _Z12vanGenuchtenPKdS0_PdS1_S1_i
    .private_segment_fixed_size: 0
    .sgpr_count:     76
    .sgpr_spill_count: 0
    .symbol:         _Z12vanGenuchtenPKdS0_PdS1_S1_i.kd
    .uniform_work_group_size: 1
    .uses_dynamic_stack: false
    .vgpr_count:     37
    .vgpr_spill_count: 0
    .wavefront_size: 32
    .workgroup_processor_mode: 1
amdhsa.target:   amdgcn-amd-amdhsa--gfx1100
amdhsa.version:
  - 1
  - 2
...

	.end_amdgpu_metadata
